;; amdgpu-corpus repo=ROCm/rocFFT kind=compiled arch=gfx950 opt=O3
	.text
	.amdgcn_target "amdgcn-amd-amdhsa--gfx950"
	.amdhsa_code_object_version 6
	.protected	bluestein_single_back_len507_dim1_dp_op_CI_CI ; -- Begin function bluestein_single_back_len507_dim1_dp_op_CI_CI
	.globl	bluestein_single_back_len507_dim1_dp_op_CI_CI
	.p2align	8
	.type	bluestein_single_back_len507_dim1_dp_op_CI_CI,@function
bluestein_single_back_len507_dim1_dp_op_CI_CI: ; @bluestein_single_back_len507_dim1_dp_op_CI_CI
; %bb.0:
	s_load_dwordx4 s[16:19], s[0:1], 0x28
	v_mul_u32_u24_e32 v1, 0x691, v0
	v_lshrrev_b32_e32 v2, 16, v1
	v_mad_u64_u32 v[202:203], s[2:3], s2, 3, v[2:3]
	v_mov_b32_e32 v203, 0
	s_waitcnt lgkmcnt(0)
	v_cmp_gt_u64_e32 vcc, s[16:17], v[202:203]
	s_and_saveexec_b64 s[2:3], vcc
	s_cbranch_execz .LBB0_10
; %bb.1:
	s_load_dwordx4 s[12:15], s[0:1], 0x18
	s_load_dwordx4 s[8:11], s[0:1], 0x0
	v_mul_lo_u16_e32 v1, 39, v2
	v_sub_u16_e32 v200, v0, v1
	v_mov_b32_e32 v4, s18
	s_waitcnt lgkmcnt(0)
	s_load_dwordx4 s[4:7], s[12:13], 0x0
	v_mov_b32_e32 v5, s19
	v_mov_b32_e32 v30, 0x270
	v_lshlrev_b32_e32 v152, 4, v200
	v_mov_b32_e32 v153, v203
	s_waitcnt lgkmcnt(0)
	v_mad_u64_u32 v[0:1], s[2:3], s6, v202, 0
	v_mov_b32_e32 v2, v1
	v_mad_u64_u32 v[2:3], s[2:3], s7, v202, v[2:3]
	v_mov_b32_e32 v1, v2
	v_mad_u64_u32 v[2:3], s[2:3], s4, v200, 0
	v_mov_b32_e32 v6, v3
	v_mad_u64_u32 v[6:7], s[2:3], s5, v200, v[6:7]
	v_mov_b32_e32 v3, v6
	v_lshl_add_u64 v[0:1], v[0:1], 4, v[4:5]
	v_lshl_add_u64 v[0:1], v[2:3], 4, v[0:1]
	global_load_dwordx4 v[52:55], v[0:1], off
	v_mad_u64_u32 v[0:1], s[2:3], s4, v30, v[0:1]
	s_mul_i32 s2, s5, 0x270
	s_nop 0
	v_add_u32_e32 v1, s2, v1
	global_load_dwordx4 v[44:47], v152, s[8:9]
	global_load_dwordx4 v[16:19], v152, s[8:9] offset:624
	v_mad_u64_u32 v[2:3], s[6:7], s4, v30, v[0:1]
	v_add_u32_e32 v3, s2, v3
	global_load_dwordx4 v[60:63], v[0:1], off
	global_load_dwordx4 v[56:59], v[2:3], off
	v_mad_u64_u32 v[0:1], s[6:7], s4, v30, v[2:3]
	v_add_u32_e32 v1, s2, v1
	global_load_dwordx4 v[40:43], v152, s[8:9] offset:1248
	global_load_dwordx4 v[32:35], v152, s[8:9] offset:1872
	v_mad_u64_u32 v[2:3], s[6:7], s4, v30, v[0:1]
	v_add_u32_e32 v3, s2, v3
	global_load_dwordx4 v[68:71], v[0:1], off
	global_load_dwordx4 v[64:67], v[2:3], off
	v_mad_u64_u32 v[0:1], s[6:7], s4, v30, v[2:3]
	v_add_u32_e32 v1, s2, v1
	global_load_dwordx4 v[72:75], v[0:1], off
	global_load_dwordx4 v[48:51], v152, s[8:9] offset:2496
	global_load_dwordx4 v[20:23], v152, s[8:9] offset:3120
	v_mad_u64_u32 v[6:7], s[6:7], s4, v30, v[0:1]
	v_lshl_add_u64 v[4:5], s[8:9], 0, v[152:153]
	v_add_u32_e32 v7, s2, v7
	s_movk_i32 s3, 0x1000
	global_load_dwordx4 v[76:79], v[6:7], off
	global_load_dwordx4 v[108:111], v152, s[8:9] offset:3744
	v_mad_u64_u32 v[6:7], s[6:7], s4, v30, v[6:7]
	v_add_co_u32_e32 v104, vcc, s3, v4
	v_add_u32_e32 v7, s2, v7
	s_nop 0
	v_addc_co_u32_e32 v105, vcc, 0, v5, vcc
	global_load_dwordx4 v[80:83], v[6:7], off
	global_load_dwordx4 v[36:39], v[104:105], off offset:272
	v_mad_u64_u32 v[4:5], s[6:7], s4, v30, v[6:7]
	v_add_u32_e32 v5, s2, v5
	global_load_dwordx4 v[84:87], v[4:5], off
	global_load_dwordx4 v[8:11], v[104:105], off offset:896
	v_mad_u64_u32 v[4:5], s[6:7], s4, v30, v[4:5]
	v_add_u32_e32 v5, s2, v5
	;; [unrolled: 4-line block ×5, first 2 shown]
	global_load_dwordx4 v[100:103], v[106:107], off
	global_load_dwordx4 v[28:31], v[104:105], off offset:3392
	s_load_dwordx2 s[2:3], s[0:1], 0x38
	s_load_dwordx4 s[4:7], s[14:15], 0x0
	s_mov_b32 s0, 0xaaaaaaab
	v_mul_hi_u32 v0, v202, s0
	v_lshrrev_b32_e32 v0, 1, v0
	v_lshl_add_u32 v0, v0, 1, v0
	v_sub_u32_e32 v0, v202, v0
	v_mul_u32_u24_e32 v0, 0x1fb, v0
	v_lshlrev_b32_e32 v1, 4, v0
	v_add_u32_e32 v201, v152, v1
	s_mov_b32 s26, 0x42a4c3d2
	s_mov_b32 s36, 0x66966769
	;; [unrolled: 1-line block ×18, first 2 shown]
	s_waitcnt vmcnt(24)
	v_mul_f64 v[104:105], v[54:55], v[46:47]
	v_fmac_f64_e32 v[104:105], v[52:53], v[44:45]
	v_mul_f64 v[52:53], v[52:53], v[46:47]
	v_fma_f64 v[106:107], v[54:55], v[44:45], -v[52:53]
	s_waitcnt vmcnt(22)
	v_mul_f64 v[52:53], v[62:63], v[18:19]
	v_mul_f64 v[54:55], v[60:61], v[18:19]
	v_fmac_f64_e32 v[52:53], v[60:61], v[16:17]
	v_fma_f64 v[54:55], v[62:63], v[16:17], -v[54:55]
	ds_write_b128 v201, v[52:55] offset:624
	s_waitcnt vmcnt(20)
	v_mul_f64 v[52:53], v[58:59], v[42:43]
	v_mul_f64 v[54:55], v[56:57], v[42:43]
	v_fmac_f64_e32 v[52:53], v[56:57], v[40:41]
	v_fma_f64 v[54:55], v[58:59], v[40:41], -v[54:55]
	ds_write_b128 v201, v[52:55] offset:1248
	;; [unrolled: 6-line block ×11, first 2 shown]
	s_waitcnt vmcnt(0)
	v_mul_f64 v[52:53], v[102:103], v[30:31]
	v_mul_f64 v[54:55], v[100:101], v[30:31]
	v_fmac_f64_e32 v[52:53], v[100:101], v[28:29]
	v_fma_f64 v[54:55], v[102:103], v[28:29], -v[54:55]
	ds_write_b128 v201, v[104:107]
	ds_write_b128 v201, v[52:55] offset:7488
	s_waitcnt lgkmcnt(0)
	s_barrier
	ds_read_b128 v[84:87], v201
	ds_read_b128 v[96:99], v201 offset:624
	ds_read_b128 v[92:95], v201 offset:1248
	ds_read_b128 v[80:83], v201 offset:1872
	ds_read_b128 v[72:75], v201 offset:2496
	ds_read_b128 v[64:67], v201 offset:3120
	ds_read_b128 v[56:59], v201 offset:3744
	ds_read_b128 v[60:63], v201 offset:4368
	ds_read_b128 v[68:71], v201 offset:4992
	ds_read_b128 v[76:79], v201 offset:5616
	ds_read_b128 v[88:91], v201 offset:6240
	ds_read_b128 v[100:103], v201 offset:6864
	ds_read_b128 v[104:107], v201 offset:7488
	s_waitcnt lgkmcnt(11)
	v_add_f64 v[52:53], v[84:85], v[96:97]
	v_add_f64 v[54:55], v[86:87], v[98:99]
	s_waitcnt lgkmcnt(10)
	v_add_f64 v[52:53], v[52:53], v[92:93]
	v_add_f64 v[54:55], v[54:55], v[94:95]
	;; [unrolled: 3-line block ×8, first 2 shown]
	s_waitcnt lgkmcnt(3)
	v_add_f64 v[52:53], v[52:53], v[76:77]
	v_accvgpr_write_b32 a0, v108
	v_add_f64 v[54:55], v[54:55], v[78:79]
	s_waitcnt lgkmcnt(2)
	v_add_f64 v[52:53], v[52:53], v[88:89]
	v_accvgpr_write_b32 a1, v109
	v_accvgpr_write_b32 a2, v110
	;; [unrolled: 1-line block ×3, first 2 shown]
	v_add_f64 v[54:55], v[54:55], v[90:91]
	s_waitcnt lgkmcnt(1)
	v_add_f64 v[52:53], v[52:53], v[100:101]
	s_waitcnt lgkmcnt(0)
	v_add_f64 v[110:111], v[98:99], v[106:107]
	v_add_f64 v[98:99], v[98:99], -v[106:107]
	v_add_f64 v[54:55], v[54:55], v[102:103]
	v_add_f64 v[52:53], v[52:53], v[104:105]
	;; [unrolled: 1-line block ×3, first 2 shown]
	v_add_f64 v[96:97], v[96:97], -v[104:105]
	v_mul_f64 v[104:105], v[98:99], s[16:17]
	s_mov_b32 s15, 0x3fec55a7
	v_mul_f64 v[116:117], v[98:99], s[26:27]
	s_mov_b32 s13, 0x3fe22d96
	;; [unrolled: 2-line block ×6, first 2 shown]
	v_add_f64 v[54:55], v[54:55], v[106:107]
	v_fma_f64 v[106:107], v[108:109], s[14:15], -v[104:105]
	v_mul_f64 v[112:113], v[96:97], s[16:17]
	v_fmac_f64_e32 v[104:105], s[14:15], v[108:109]
	v_fma_f64 v[118:119], v[108:109], s[12:13], -v[116:117]
	v_mul_f64 v[120:121], v[96:97], s[26:27]
	v_fmac_f64_e32 v[116:117], s[12:13], v[108:109]
	;; [unrolled: 3-line block ×6, first 2 shown]
	v_add_f64 v[106:107], v[84:85], v[106:107]
	v_fma_f64 v[114:115], s[14:15], v[110:111], v[112:113]
	v_add_f64 v[104:105], v[84:85], v[104:105]
	v_fma_f64 v[112:113], v[110:111], s[14:15], -v[112:113]
	v_add_f64 v[118:119], v[84:85], v[118:119]
	v_fma_f64 v[122:123], s[12:13], v[110:111], v[120:121]
	v_add_f64 v[116:117], v[84:85], v[116:117]
	v_fma_f64 v[120:121], v[110:111], s[12:13], -v[120:121]
	;; [unrolled: 4-line block ×6, first 2 shown]
	v_add_f64 v[98:99], v[94:95], v[102:103]
	v_add_f64 v[94:95], v[94:95], -v[102:103]
	v_add_f64 v[114:115], v[86:87], v[114:115]
	v_add_f64 v[112:113], v[86:87], v[112:113]
	;; [unrolled: 1-line block ×13, first 2 shown]
	v_add_f64 v[92:93], v[92:93], -v[100:101]
	v_mul_f64 v[100:101], v[94:95], s[26:27]
	v_fma_f64 v[102:103], v[96:97], s[12:13], -v[100:101]
	v_add_f64 v[102:103], v[102:103], v[106:107]
	v_mul_f64 v[106:107], v[92:93], s[26:27]
	v_fmac_f64_e32 v[100:101], s[12:13], v[96:97]
	v_fma_f64 v[108:109], s[12:13], v[98:99], v[106:107]
	v_add_f64 v[100:101], v[100:101], v[104:105]
	v_fma_f64 v[104:105], v[98:99], s[12:13], -v[106:107]
	v_mul_f64 v[106:107], v[94:95], s[20:21]
	v_fma_f64 v[110:111], v[96:97], s[18:19], -v[106:107]
	v_fmac_f64_e32 v[106:107], s[18:19], v[96:97]
	v_add_f64 v[104:105], v[104:105], v[112:113]
	v_mul_f64 v[112:113], v[92:93], s[20:21]
	v_add_f64 v[106:107], v[106:107], v[116:117]
	v_mul_f64 v[116:117], v[94:95], s[34:35]
	v_add_f64 v[108:109], v[108:109], v[114:115]
	v_add_f64 v[110:111], v[110:111], v[118:119]
	v_fma_f64 v[114:115], s[18:19], v[98:99], v[112:113]
	v_fma_f64 v[112:113], v[98:99], s[18:19], -v[112:113]
	v_fma_f64 v[118:119], v[96:97], s[30:31], -v[116:117]
	v_fmac_f64_e32 v[116:117], s[30:31], v[96:97]
	s_mov_b32 s39, 0x3fe5384d
	s_mov_b32 s38, s24
	v_add_f64 v[112:113], v[112:113], v[120:121]
	v_mul_f64 v[120:121], v[92:93], s[34:35]
	v_add_f64 v[116:117], v[116:117], v[124:125]
	v_mul_f64 v[124:125], v[94:95], s[38:39]
	v_add_f64 v[114:115], v[114:115], v[122:123]
	v_add_f64 v[118:119], v[118:119], v[126:127]
	v_fma_f64 v[122:123], s[30:31], v[98:99], v[120:121]
	v_fma_f64 v[120:121], v[98:99], s[30:31], -v[120:121]
	v_fma_f64 v[126:127], v[96:97], s[22:23], -v[124:125]
	v_fmac_f64_e32 v[124:125], s[22:23], v[96:97]
	s_mov_b32 s29, 0x3fefc445
	s_mov_b32 s28, s36
	v_add_f64 v[120:121], v[120:121], v[128:129]
	v_mul_f64 v[128:129], v[92:93], s[38:39]
	v_add_f64 v[124:125], v[124:125], v[132:133]
	v_mul_f64 v[132:133], v[94:95], s[28:29]
	s_mov_b32 s17, 0x3fddbe06
	v_add_f64 v[122:123], v[122:123], v[130:131]
	v_add_f64 v[126:127], v[126:127], v[134:135]
	v_fma_f64 v[130:131], s[22:23], v[98:99], v[128:129]
	v_fma_f64 v[128:129], v[98:99], s[22:23], -v[128:129]
	v_fma_f64 v[134:135], v[96:97], s[0:1], -v[132:133]
	v_fmac_f64_e32 v[132:133], s[0:1], v[96:97]
	v_mul_f64 v[94:95], v[94:95], s[16:17]
	v_add_f64 v[128:129], v[128:129], v[136:137]
	v_mul_f64 v[136:137], v[92:93], s[28:29]
	v_add_f64 v[132:133], v[132:133], v[140:141]
	v_fma_f64 v[140:141], v[96:97], s[14:15], -v[94:95]
	v_mul_f64 v[92:93], v[92:93], s[16:17]
	v_fmac_f64_e32 v[94:95], s[14:15], v[96:97]
	v_add_f64 v[134:135], v[134:135], v[142:143]
	v_fma_f64 v[142:143], s[14:15], v[98:99], v[92:93]
	v_add_f64 v[84:85], v[94:95], v[84:85]
	v_fma_f64 v[92:93], v[98:99], s[14:15], -v[92:93]
	v_add_f64 v[94:95], v[82:83], v[90:91]
	v_add_f64 v[82:83], v[82:83], -v[90:91]
	v_add_f64 v[86:87], v[92:93], v[86:87]
	v_add_f64 v[92:93], v[80:81], v[88:89]
	v_add_f64 v[80:81], v[80:81], -v[88:89]
	v_mul_f64 v[88:89], v[82:83], s[36:37]
	v_fma_f64 v[90:91], v[92:93], s[0:1], -v[88:89]
	v_mul_f64 v[96:97], v[80:81], s[36:37]
	v_fmac_f64_e32 v[88:89], s[0:1], v[92:93]
	v_add_f64 v[130:131], v[130:131], v[138:139]
	v_fma_f64 v[138:139], s[0:1], v[98:99], v[136:137]
	v_fma_f64 v[136:137], v[98:99], s[0:1], -v[136:137]
	v_fma_f64 v[98:99], s[0:1], v[94:95], v[96:97]
	v_add_f64 v[88:89], v[88:89], v[100:101]
	v_fma_f64 v[96:97], v[94:95], s[0:1], -v[96:97]
	v_mul_f64 v[100:101], v[82:83], s[34:35]
	v_add_f64 v[90:91], v[90:91], v[102:103]
	v_add_f64 v[96:97], v[96:97], v[104:105]
	v_fma_f64 v[102:103], v[92:93], s[30:31], -v[100:101]
	v_mul_f64 v[104:105], v[80:81], s[34:35]
	v_fmac_f64_e32 v[100:101], s[30:31], v[92:93]
	s_mov_b32 s41, 0x3fedeba7
	s_mov_b32 s40, s20
	v_add_f64 v[98:99], v[98:99], v[108:109]
	v_fma_f64 v[108:109], s[30:31], v[94:95], v[104:105]
	v_add_f64 v[100:101], v[100:101], v[106:107]
	v_fma_f64 v[104:105], v[94:95], s[30:31], -v[104:105]
	v_mul_f64 v[106:107], v[82:83], s[40:41]
	v_add_f64 v[102:103], v[102:103], v[110:111]
	v_add_f64 v[104:105], v[104:105], v[112:113]
	v_fma_f64 v[110:111], v[92:93], s[18:19], -v[106:107]
	v_mul_f64 v[112:113], v[80:81], s[40:41]
	v_fmac_f64_e32 v[106:107], s[18:19], v[92:93]
	v_add_f64 v[108:109], v[108:109], v[114:115]
	v_fma_f64 v[114:115], s[18:19], v[94:95], v[112:113]
	v_add_f64 v[106:107], v[106:107], v[116:117]
	v_fma_f64 v[112:113], v[94:95], s[18:19], -v[112:113]
	v_mul_f64 v[116:117], v[82:83], s[16:17]
	v_add_f64 v[110:111], v[110:111], v[118:119]
	v_add_f64 v[112:113], v[112:113], v[120:121]
	v_fma_f64 v[118:119], v[92:93], s[14:15], -v[116:117]
	v_mul_f64 v[120:121], v[80:81], s[16:17]
	v_fmac_f64_e32 v[116:117], s[14:15], v[92:93]
	v_add_f64 v[114:115], v[114:115], v[122:123]
	v_fma_f64 v[122:123], s[14:15], v[94:95], v[120:121]
	v_add_f64 v[116:117], v[116:117], v[124:125]
	v_fma_f64 v[120:121], v[94:95], s[14:15], -v[120:121]
	v_mul_f64 v[124:125], v[82:83], s[26:27]
	v_add_f64 v[118:119], v[118:119], v[126:127]
	v_add_f64 v[120:121], v[120:121], v[128:129]
	v_fma_f64 v[126:127], v[92:93], s[12:13], -v[124:125]
	v_mul_f64 v[128:129], v[80:81], s[26:27]
	v_mul_f64 v[80:81], v[80:81], s[24:25]
	v_add_f64 v[126:127], v[126:127], v[134:135]
	v_fmac_f64_e32 v[124:125], s[12:13], v[92:93]
	v_mul_f64 v[82:83], v[82:83], s[24:25]
	v_fma_f64 v[134:135], s[22:23], v[94:95], v[80:81]
	v_fma_f64 v[80:81], v[94:95], s[22:23], -v[80:81]
	v_add_f64 v[124:125], v[124:125], v[132:133]
	v_fma_f64 v[132:133], v[92:93], s[22:23], -v[82:83]
	v_fmac_f64_e32 v[82:83], s[22:23], v[92:93]
	v_add_f64 v[80:81], v[80:81], v[86:87]
	v_add_f64 v[86:87], v[74:75], v[78:79]
	v_add_f64 v[74:75], v[74:75], -v[78:79]
	v_add_f64 v[82:83], v[82:83], v[84:85]
	v_add_f64 v[84:85], v[72:73], v[76:77]
	v_add_f64 v[72:73], v[72:73], -v[76:77]
	v_mul_f64 v[76:77], v[74:75], s[20:21]
	v_fma_f64 v[78:79], v[84:85], s[18:19], -v[76:77]
	v_add_f64 v[78:79], v[78:79], v[90:91]
	v_mul_f64 v[90:91], v[72:73], s[20:21]
	v_fmac_f64_e32 v[76:77], s[18:19], v[84:85]
	v_fma_f64 v[92:93], s[18:19], v[86:87], v[90:91]
	v_add_f64 v[76:77], v[76:77], v[88:89]
	v_fma_f64 v[88:89], v[86:87], s[18:19], -v[90:91]
	v_mul_f64 v[90:91], v[74:75], s[38:39]
	v_add_f64 v[122:123], v[122:123], v[130:131]
	v_fma_f64 v[130:131], s[12:13], v[94:95], v[128:129]
	v_fma_f64 v[128:129], v[94:95], s[12:13], -v[128:129]
	v_fma_f64 v[94:95], v[84:85], s[22:23], -v[90:91]
	v_fmac_f64_e32 v[90:91], s[22:23], v[84:85]
	v_add_f64 v[88:89], v[88:89], v[96:97]
	v_mul_f64 v[96:97], v[72:73], s[38:39]
	v_add_f64 v[90:91], v[90:91], v[100:101]
	v_mul_f64 v[100:101], v[74:75], s[16:17]
	v_add_f64 v[92:93], v[92:93], v[98:99]
	v_add_f64 v[94:95], v[94:95], v[102:103]
	v_fma_f64 v[98:99], s[22:23], v[86:87], v[96:97]
	v_fma_f64 v[96:97], v[86:87], s[22:23], -v[96:97]
	v_fma_f64 v[102:103], v[84:85], s[14:15], -v[100:101]
	v_fmac_f64_e32 v[100:101], s[14:15], v[84:85]
	v_add_f64 v[96:97], v[96:97], v[104:105]
	v_mul_f64 v[104:105], v[72:73], s[16:17]
	v_add_f64 v[100:101], v[100:101], v[106:107]
	v_mul_f64 v[106:107], v[74:75], s[36:37]
	v_add_f64 v[98:99], v[98:99], v[108:109]
	v_add_f64 v[102:103], v[102:103], v[110:111]
	v_fma_f64 v[108:109], s[14:15], v[86:87], v[104:105]
	v_fma_f64 v[104:105], v[86:87], s[14:15], -v[104:105]
	v_fma_f64 v[110:111], v[84:85], s[0:1], -v[106:107]
	v_fmac_f64_e32 v[106:107], s[0:1], v[84:85]
	s_mov_b32 s39, 0x3fcea1e5
	s_mov_b32 s38, s34
	v_add_f64 v[104:105], v[104:105], v[112:113]
	v_mul_f64 v[112:113], v[72:73], s[36:37]
	v_add_f64 v[106:107], v[106:107], v[116:117]
	v_mul_f64 v[116:117], v[74:75], s[38:39]
	s_mov_b32 s37, 0x3fea55e2
	s_mov_b32 s36, s26
	v_add_f64 v[108:109], v[108:109], v[114:115]
	v_add_f64 v[110:111], v[110:111], v[118:119]
	v_fma_f64 v[114:115], s[0:1], v[86:87], v[112:113]
	v_fma_f64 v[112:113], v[86:87], s[0:1], -v[112:113]
	v_fma_f64 v[118:119], v[84:85], s[30:31], -v[116:117]
	v_fmac_f64_e32 v[116:117], s[30:31], v[84:85]
	v_mul_f64 v[74:75], v[74:75], s[36:37]
	v_add_f64 v[112:113], v[112:113], v[120:121]
	v_mul_f64 v[120:121], v[72:73], s[38:39]
	v_add_f64 v[116:117], v[116:117], v[124:125]
	v_fma_f64 v[124:125], v[84:85], s[12:13], -v[74:75]
	v_mul_f64 v[72:73], v[72:73], s[36:37]
	v_fmac_f64_e32 v[74:75], s[12:13], v[84:85]
	v_add_f64 v[118:119], v[118:119], v[126:127]
	v_fma_f64 v[126:127], s[12:13], v[86:87], v[72:73]
	v_add_f64 v[74:75], v[74:75], v[82:83]
	v_fma_f64 v[72:73], v[86:87], s[12:13], -v[72:73]
	v_add_f64 v[82:83], v[66:67], v[70:71]
	v_add_f64 v[66:67], v[66:67], -v[70:71]
	v_add_f64 v[72:73], v[72:73], v[80:81]
	v_add_f64 v[80:81], v[64:65], v[68:69]
	v_add_f64 v[64:65], v[64:65], -v[68:69]
	v_mul_f64 v[68:69], v[66:67], s[24:25]
	v_fma_f64 v[70:71], v[80:81], s[22:23], -v[68:69]
	v_add_f64 v[70:71], v[70:71], v[78:79]
	v_mul_f64 v[78:79], v[64:65], s[24:25]
	v_fmac_f64_e32 v[68:69], s[22:23], v[80:81]
	v_fma_f64 v[84:85], s[22:23], v[82:83], v[78:79]
	v_add_f64 v[68:69], v[68:69], v[76:77]
	v_fma_f64 v[76:77], v[82:83], s[22:23], -v[78:79]
	v_mul_f64 v[78:79], v[66:67], s[28:29]
	v_add_f64 v[114:115], v[114:115], v[122:123]
	v_fma_f64 v[122:123], s[30:31], v[86:87], v[120:121]
	v_fma_f64 v[120:121], v[86:87], s[30:31], -v[120:121]
	v_fma_f64 v[86:87], v[80:81], s[0:1], -v[78:79]
	v_fmac_f64_e32 v[78:79], s[0:1], v[80:81]
	v_add_f64 v[76:77], v[76:77], v[88:89]
	v_mul_f64 v[88:89], v[64:65], s[28:29]
	v_add_f64 v[78:79], v[78:79], v[90:91]
	v_mul_f64 v[90:91], v[66:67], s[26:27]
	v_add_f64 v[84:85], v[84:85], v[92:93]
	v_add_f64 v[86:87], v[86:87], v[94:95]
	v_fma_f64 v[92:93], s[0:1], v[82:83], v[88:89]
	v_fma_f64 v[88:89], v[82:83], s[0:1], -v[88:89]
	v_fma_f64 v[94:95], v[80:81], s[12:13], -v[90:91]
	v_fmac_f64_e32 v[90:91], s[12:13], v[80:81]
	v_add_f64 v[88:89], v[88:89], v[96:97]
	v_mul_f64 v[96:97], v[64:65], s[26:27]
	v_add_f64 v[90:91], v[90:91], v[100:101]
	v_mul_f64 v[100:101], v[66:67], s[38:39]
	v_add_f64 v[92:93], v[92:93], v[98:99]
	v_add_f64 v[94:95], v[94:95], v[102:103]
	v_fma_f64 v[98:99], s[12:13], v[82:83], v[96:97]
	v_fma_f64 v[96:97], v[82:83], s[12:13], -v[96:97]
	v_fma_f64 v[102:103], v[80:81], s[30:31], -v[100:101]
	v_add_f64 v[96:97], v[96:97], v[104:105]
	v_add_f64 v[104:105], v[102:103], v[110:111]
	v_mul_f64 v[102:103], v[64:65], s[38:39]
	v_fmac_f64_e32 v[100:101], s[30:31], v[80:81]
	v_add_f64 v[106:107], v[100:101], v[106:107]
	v_fma_f64 v[100:101], v[82:83], s[30:31], -v[102:103]
	v_add_f64 v[110:111], v[100:101], v[112:113]
	v_mul_f64 v[100:101], v[66:67], s[16:17]
	v_add_f64 v[136:137], v[136:137], v[144:145]
	v_add_f64 v[142:143], v[142:143], v[150:151]
	;; [unrolled: 1-line block ×3, first 2 shown]
	v_fma_f64 v[108:109], s[30:31], v[82:83], v[102:103]
	v_fma_f64 v[102:103], v[80:81], s[14:15], -v[100:101]
	v_add_f64 v[140:141], v[140:141], v[148:149]
	v_add_f64 v[128:129], v[128:129], v[136:137]
	;; [unrolled: 1-line block ×4, first 2 shown]
	v_mul_f64 v[102:103], v[64:65], s[16:17]
	v_fmac_f64_e32 v[100:101], s[14:15], v[80:81]
	v_add_f64 v[138:139], v[138:139], v[146:147]
	v_add_f64 v[132:133], v[132:133], v[140:141]
	;; [unrolled: 1-line block ×5, first 2 shown]
	v_fma_f64 v[100:101], v[82:83], s[14:15], -v[102:103]
	v_mul_f64 v[66:67], v[66:67], s[20:21]
	v_add_f64 v[134:135], v[58:59], -v[62:63]
	v_add_f64 v[130:131], v[130:131], v[138:139]
	v_add_f64 v[124:125], v[124:125], v[132:133]
	;; [unrolled: 1-line block ×3, first 2 shown]
	v_fma_f64 v[100:101], v[80:81], s[18:19], -v[66:67]
	v_mul_f64 v[64:65], v[64:65], s[20:21]
	v_fmac_f64_e32 v[66:67], s[18:19], v[80:81]
	v_add_f64 v[128:129], v[56:57], v[60:61]
	v_add_f64 v[132:133], v[56:57], -v[60:61]
	v_mul_f64 v[60:61], v[134:135], s[34:35]
	v_add_f64 v[122:123], v[122:123], v[130:131]
	v_add_f64 v[108:109], v[108:109], v[114:115]
	v_fma_f64 v[114:115], s[14:15], v[82:83], v[102:103]
	v_add_f64 v[120:121], v[100:101], v[124:125]
	v_fma_f64 v[100:101], s[18:19], v[82:83], v[64:65]
	v_add_f64 v[124:125], v[66:67], v[74:75]
	v_fma_f64 v[64:65], v[82:83], s[18:19], -v[64:65]
	v_add_f64 v[130:131], v[58:59], v[62:63]
	v_fma_f64 v[56:57], v[128:129], s[30:31], -v[60:61]
	v_mul_f64 v[74:75], v[132:133], s[24:25]
	v_add_f64 v[114:115], v[114:115], v[122:123]
	v_add_f64 v[122:123], v[100:101], v[126:127]
	;; [unrolled: 1-line block ×4, first 2 shown]
	v_mul_f64 v[62:63], v[132:133], s[34:35]
	v_fmac_f64_e32 v[60:61], s[30:31], v[128:129]
	v_mul_f64 v[66:67], v[132:133], s[16:17]
	v_mul_f64 v[72:73], v[134:135], s[24:25]
	v_fma_f64 v[70:71], s[22:23], v[130:131], v[74:75]
	v_fma_f64 v[74:75], v[130:131], s[22:23], -v[74:75]
	v_fma_f64 v[58:59], s[30:31], v[130:131], v[62:63]
	v_add_f64 v[100:101], v[60:61], v[68:69]
	v_fma_f64 v[60:61], v[130:131], s[30:31], -v[62:63]
	v_mul_f64 v[64:65], v[134:135], s[16:17]
	v_fma_f64 v[62:63], s[14:15], v[130:131], v[66:67]
	v_fma_f64 v[66:67], v[130:131], s[14:15], -v[66:67]
	v_fma_f64 v[68:69], v[128:129], s[22:23], -v[72:73]
	v_add_f64 v[70:71], v[70:71], v[98:99]
	v_fmac_f64_e32 v[72:73], s[22:23], v[128:129]
	v_add_f64 v[74:75], v[74:75], v[96:97]
	v_mul_f64 v[96:97], v[134:135], s[28:29]
	v_mul_f64 v[98:99], v[132:133], s[28:29]
	v_add_f64 v[102:103], v[60:61], v[76:77]
	v_fma_f64 v[60:61], v[128:129], s[14:15], -v[64:65]
	v_add_f64 v[62:63], v[62:63], v[92:93]
	v_fmac_f64_e32 v[64:65], s[14:15], v[128:129]
	v_add_f64 v[66:67], v[66:67], v[88:89]
	v_add_f64 v[68:69], v[68:69], v[94:95]
	;; [unrolled: 1-line block ×3, first 2 shown]
	v_mul_f64 v[80:81], v[134:135], s[36:37]
	v_mul_f64 v[82:83], v[132:133], s[36:37]
	;; [unrolled: 1-line block ×4, first 2 shown]
	v_fma_f64 v[92:93], v[128:129], s[0:1], -v[96:97]
	v_fma_f64 v[94:95], s[0:1], v[130:131], v[98:99]
	v_fmac_f64_e32 v[96:97], s[0:1], v[128:129]
	v_fma_f64 v[98:99], v[130:131], s[0:1], -v[98:99]
	v_mul_lo_u16_e32 v0, 13, v200
	v_add_f64 v[58:59], v[58:59], v[84:85]
	v_add_f64 v[60:61], v[60:61], v[86:87]
	v_add_f64 v[64:65], v[64:65], v[78:79]
	v_fma_f64 v[76:77], v[128:129], s[12:13], -v[80:81]
	v_fma_f64 v[78:79], s[12:13], v[130:131], v[82:83]
	v_fmac_f64_e32 v[80:81], s[12:13], v[128:129]
	v_fma_f64 v[82:83], v[130:131], s[12:13], -v[82:83]
	v_fma_f64 v[84:85], v[128:129], s[18:19], -v[88:89]
	v_fma_f64 v[86:87], s[18:19], v[130:131], v[90:91]
	v_fmac_f64_e32 v[88:89], s[18:19], v[128:129]
	v_fma_f64 v[90:91], v[130:131], s[18:19], -v[90:91]
	v_add_f64 v[92:93], v[92:93], v[120:121]
	v_add_f64 v[94:95], v[94:95], v[122:123]
	;; [unrolled: 1-line block ×4, first 2 shown]
	v_lshl_add_u32 v184, v0, 4, v1
	v_add_f64 v[76:77], v[76:77], v[104:105]
	v_add_f64 v[78:79], v[78:79], v[108:109]
	;; [unrolled: 1-line block ×8, first 2 shown]
	s_barrier
	ds_write_b128 v184, v[52:55]
	ds_write_b128 v184, v[56:59] offset:16
	ds_write_b128 v184, v[60:63] offset:32
	;; [unrolled: 1-line block ×12, first 2 shown]
	s_waitcnt lgkmcnt(0)
	s_barrier
	ds_read_b128 v[116:119], v201
	ds_read_b128 v[112:115], v201 offset:624
	ds_read_b128 v[128:131], v201 offset:2704
	;; [unrolled: 1-line block ×11, first 2 shown]
	v_accvgpr_write_b32 a4, v1
	v_cmp_gt_u16_e32 vcc, 13, v200
                                        ; implicit-def: $vgpr144_vgpr145
                                        ; implicit-def: $vgpr148_vgpr149
	s_and_saveexec_b64 s[0:1], vcc
	s_cbranch_execz .LBB0_3
; %bb.2:
	ds_read_b128 v[100:103], v201 offset:2496
	ds_read_b128 v[144:147], v201 offset:5200
	;; [unrolled: 1-line block ×3, first 2 shown]
.LBB0_3:
	s_or_b64 exec, exec, s[0:1]
	s_movk_i32 s0, 0x4f
	v_mul_lo_u16_sdwa v0, v200, s0 dst_sel:DWORD dst_unused:UNUSED_PAD src0_sel:BYTE_0 src1_sel:DWORD
	v_lshrrev_b16_e32 v0, 10, v0
	v_mul_lo_u16_e32 v1, 13, v0
	v_sub_u16_e32 v1, v200, v1
	v_mov_b32_e32 v2, 5
	v_lshlrev_b32_sdwa v3, v2, v1 dst_sel:DWORD dst_unused:UNUSED_PAD src0_sel:DWORD src1_sel:BYTE_0
	global_load_dwordx4 v[60:63], v3, s[10:11] offset:16
	global_load_dwordx4 v[64:67], v3, s[10:11]
	v_add_u16_e32 v3, 39, v200
	v_mul_lo_u16_sdwa v52, v3, s0 dst_sel:DWORD dst_unused:UNUSED_PAD src0_sel:BYTE_0 src1_sel:DWORD
	v_lshrrev_b16_e32 v153, 10, v52
	v_mul_lo_u16_e32 v52, 13, v153
	v_sub_u16_e32 v3, v3, v52
	v_lshlrev_b32_sdwa v52, v2, v3 dst_sel:DWORD dst_unused:UNUSED_PAD src0_sel:DWORD src1_sel:BYTE_0
	global_load_dwordx4 v[68:71], v52, s[10:11] offset:16
	global_load_dwordx4 v[72:75], v52, s[10:11]
	v_add_u16_e32 v52, 0x4e, v200
	v_mul_lo_u16_sdwa v53, v52, s0 dst_sel:DWORD dst_unused:UNUSED_PAD src0_sel:BYTE_0 src1_sel:DWORD
	v_lshrrev_b16_e32 v185, 10, v53
	v_mul_lo_u16_e32 v53, 13, v185
	v_sub_u16_e32 v188, v52, v53
	;; [unrolled: 8-line block ×3, first 2 shown]
	v_lshlrev_b32_sdwa v2, v2, v190 dst_sel:DWORD dst_unused:UNUSED_PAD src0_sel:DWORD src1_sel:BYTE_0
	global_load_dwordx4 v[88:91], v2, s[10:11]
	global_load_dwordx4 v[84:87], v2, s[10:11] offset:16
	v_add_u16_e32 v2, 0x9c, v200
	v_mul_lo_u16_sdwa v52, v2, s0 dst_sel:DWORD dst_unused:UNUSED_PAD src0_sel:BYTE_0 src1_sel:DWORD
	v_lshrrev_b16_e32 v52, 10, v52
	v_mul_lo_u16_e32 v52, 13, v52
	v_sub_u16_e32 v2, v2, v52
	v_accvgpr_write_b32 a5, v2
	v_lshlrev_b16_e32 v2, 1, v2
	v_and_b32_e32 v2, 0xfe, v2
	v_lshlrev_b32_e32 v2, 4, v2
	global_load_dwordx4 v[56:59], v2, s[10:11]
	global_load_dwordx4 v[52:55], v2, s[10:11] offset:16
	s_mov_b32 s0, 0xe8584caa
	s_mov_b32 s1, 0x3febb67a
	;; [unrolled: 1-line block ×4, first 2 shown]
	v_mul_u32_u24_e32 v0, 39, v0
	v_add_u32_sdwa v0, v0, v1 dst_sel:DWORD dst_unused:UNUSED_PAD src0_sel:DWORD src1_sel:BYTE_0
	v_accvgpr_read_b32 v1, a4
	v_lshl_add_u32 v0, v0, 4, v1
	s_waitcnt lgkmcnt(0)
	s_barrier
	v_accvgpr_write_b32 a6, v0
	s_waitcnt vmcnt(9)
	v_mul_f64 v[158:159], v[134:135], v[62:63]
	s_waitcnt vmcnt(8)
	v_mul_f64 v[154:155], v[130:131], v[66:67]
	v_mul_f64 v[156:157], v[128:129], v[66:67]
	;; [unrolled: 1-line block ×3, first 2 shown]
	v_fma_f64 v[154:155], v[128:129], v[64:65], -v[154:155]
	v_fma_f64 v[158:159], v[132:133], v[60:61], -v[158:159]
	v_fmac_f64_e32 v[156:157], v[130:131], v[64:65]
	v_fmac_f64_e32 v[160:161], v[134:135], v[60:61]
	v_add_f64 v[130:131], v[154:155], v[158:159]
	s_waitcnt vmcnt(6)
	v_mul_f64 v[162:163], v[94:95], v[74:75]
	v_mul_f64 v[164:165], v[92:93], v[74:75]
	;; [unrolled: 1-line block ×3, first 2 shown]
	v_add_f64 v[128:129], v[116:117], v[154:155]
	v_add_f64 v[134:135], v[156:157], -v[160:161]
	v_fmac_f64_e32 v[116:117], -0.5, v[130:131]
	v_mul_f64 v[168:169], v[96:97], v[70:71]
	s_waitcnt vmcnt(4)
	v_mul_f64 v[170:171], v[138:139], v[82:83]
	v_mul_f64 v[172:173], v[136:137], v[82:83]
	v_fma_f64 v[92:93], v[92:93], v[72:73], -v[162:163]
	v_fmac_f64_e32 v[164:165], v[94:95], v[72:73]
	v_fma_f64 v[94:95], v[96:97], v[68:69], -v[166:167]
	v_fma_f64 v[132:133], s[0:1], v[134:135], v[116:117]
	v_fmac_f64_e32 v[116:117], s[12:13], v[134:135]
	v_add_f64 v[134:135], v[156:157], v[160:161]
	v_mul_f64 v[176:177], v[140:141], v[78:79]
	v_fmac_f64_e32 v[168:169], v[98:99], v[68:69]
	v_fma_f64 v[96:97], v[136:137], v[80:81], -v[170:171]
	v_fmac_f64_e32 v[172:173], v[138:139], v[80:81]
	v_add_f64 v[130:131], v[118:119], v[156:157]
	v_fmac_f64_e32 v[118:119], -0.5, v[134:135]
	v_add_f64 v[136:137], v[154:155], -v[158:159]
	v_add_f64 v[138:139], v[92:93], v[94:95]
	v_mul_f64 v[174:175], v[142:143], v[78:79]
	v_fmac_f64_e32 v[176:177], v[142:143], v[76:77]
	v_fma_f64 v[134:135], s[12:13], v[136:137], v[118:119]
	v_fmac_f64_e32 v[118:119], s[0:1], v[136:137]
	v_add_f64 v[136:137], v[112:113], v[92:93]
	v_fmac_f64_e32 v[112:113], -0.5, v[138:139]
	v_add_f64 v[138:139], v[164:165], -v[168:169]
	v_add_f64 v[142:143], v[164:165], v[168:169]
	s_waitcnt vmcnt(2)
	v_mul_f64 v[182:183], v[126:127], v[86:87]
	v_fma_f64 v[98:99], v[140:141], v[76:77], -v[174:175]
	v_fma_f64 v[140:141], s[0:1], v[138:139], v[112:113]
	v_fmac_f64_e32 v[112:113], s[12:13], v[138:139]
	v_add_f64 v[138:139], v[114:115], v[164:165]
	v_fmac_f64_e32 v[114:115], -0.5, v[142:143]
	v_add_f64 v[92:93], v[92:93], -v[94:95]
	v_mul_f64 v[178:179], v[122:123], v[90:91]
	v_mul_f64 v[186:187], v[124:125], v[86:87]
	v_fma_f64 v[166:167], v[124:125], v[84:85], -v[182:183]
	s_waitcnt vmcnt(1)
	v_mul_f64 v[124:125], v[146:147], v[58:59]
	v_fma_f64 v[142:143], s[12:13], v[92:93], v[114:115]
	v_fmac_f64_e32 v[114:115], s[0:1], v[92:93]
	v_add_f64 v[92:93], v[108:109], v[96:97]
	v_mul_f64 v[180:181], v[120:121], v[90:91]
	v_fma_f64 v[162:163], v[120:121], v[88:89], -v[178:179]
	v_mul_f64 v[120:121], v[144:145], v[58:59]
	v_fma_f64 v[124:125], v[144:145], v[56:57], -v[124:125]
	v_add_f64 v[144:145], v[92:93], v[98:99]
	v_add_f64 v[92:93], v[96:97], v[98:99]
	v_fmac_f64_e32 v[186:187], v[126:127], v[84:85]
	s_waitcnt vmcnt(0)
	v_mul_f64 v[126:127], v[150:151], v[54:55]
	v_fmac_f64_e32 v[108:109], -0.5, v[92:93]
	v_add_f64 v[92:93], v[172:173], -v[176:177]
	v_fmac_f64_e32 v[180:181], v[122:123], v[88:89]
	v_mul_f64 v[122:123], v[148:149], v[54:55]
	v_fma_f64 v[126:127], v[148:149], v[52:53], -v[126:127]
	v_fma_f64 v[148:149], s[0:1], v[92:93], v[108:109]
	v_fmac_f64_e32 v[108:109], s[12:13], v[92:93]
	v_add_f64 v[92:93], v[110:111], v[172:173]
	v_fmac_f64_e32 v[120:121], v[146:147], v[56:57]
	v_add_f64 v[146:147], v[92:93], v[176:177]
	v_add_f64 v[92:93], v[172:173], v[176:177]
	v_fmac_f64_e32 v[110:111], -0.5, v[92:93]
	v_add_f64 v[92:93], v[96:97], -v[98:99]
	v_fmac_f64_e32 v[122:123], v[150:151], v[52:53]
	v_fma_f64 v[150:151], s[12:13], v[92:93], v[110:111]
	v_fmac_f64_e32 v[110:111], s[0:1], v[92:93]
	v_add_f64 v[92:93], v[104:105], v[162:163]
	v_add_f64 v[128:129], v[128:129], v[158:159]
	;; [unrolled: 1-line block ×5, first 2 shown]
	v_fmac_f64_e32 v[104:105], -0.5, v[92:93]
	v_add_f64 v[92:93], v[180:181], -v[186:187]
	ds_write_b128 v0, v[128:131]
	ds_write_b128 v0, v[132:135] offset:208
	ds_write_b128 v0, v[116:119] offset:416
	v_mul_u32_u24_e32 v0, 39, v153
	v_fma_f64 v[158:159], s[0:1], v[92:93], v[104:105]
	v_fmac_f64_e32 v[104:105], s[12:13], v[92:93]
	v_add_f64 v[92:93], v[106:107], v[180:181]
	v_add_u32_sdwa v0, v0, v3 dst_sel:DWORD dst_unused:UNUSED_PAD src0_sel:DWORD src1_sel:BYTE_0
	v_add_f64 v[136:137], v[136:137], v[94:95]
	v_add_f64 v[138:139], v[138:139], v[168:169]
	;; [unrolled: 1-line block ×4, first 2 shown]
	v_lshl_add_u32 v0, v0, 4, v1
	v_fmac_f64_e32 v[106:107], -0.5, v[92:93]
	v_add_f64 v[92:93], v[162:163], -v[166:167]
	ds_write_b128 v0, v[136:139]
	ds_write_b128 v0, v[140:143] offset:208
	v_accvgpr_write_b32 a7, v0
	ds_write_b128 v0, v[112:115] offset:416
	v_mul_u32_u24_e32 v0, 39, v185
	v_fma_f64 v[160:161], s[12:13], v[92:93], v[106:107]
	v_fmac_f64_e32 v[106:107], s[0:1], v[92:93]
	v_add_f64 v[92:93], v[124:125], v[126:127]
	v_add_u32_sdwa v0, v0, v188 dst_sel:DWORD dst_unused:UNUSED_PAD src0_sel:DWORD src1_sel:BYTE_0
	v_fma_f64 v[96:97], -0.5, v[92:93], v[100:101]
	v_add_f64 v[94:95], v[120:121], -v[122:123]
	v_lshl_add_u32 v0, v0, 4, v1
	v_fma_f64 v[92:93], s[0:1], v[94:95], v[96:97]
	v_fmac_f64_e32 v[96:97], s[12:13], v[94:95]
	v_add_f64 v[94:95], v[120:121], v[122:123]
	ds_write_b128 v0, v[144:147]
	ds_write_b128 v0, v[148:151] offset:208
	v_accvgpr_write_b32 a8, v0
	ds_write_b128 v0, v[108:111] offset:416
	v_mul_u32_u24_e32 v0, 39, v189
	v_fma_f64 v[98:99], -0.5, v[94:95], v[102:103]
	v_add_f64 v[162:163], v[124:125], -v[126:127]
	v_add_u32_sdwa v0, v0, v190 dst_sel:DWORD dst_unused:UNUSED_PAD src0_sel:DWORD src1_sel:BYTE_0
	v_fma_f64 v[94:95], s[12:13], v[162:163], v[98:99]
	v_fmac_f64_e32 v[98:99], s[0:1], v[162:163]
	v_lshl_add_u32 v203, v0, 4, v1
	ds_write_b128 v203, v[154:157]
	ds_write_b128 v203, v[158:161] offset:208
	ds_write_b128 v203, v[104:107] offset:416
	s_and_saveexec_b64 s[0:1], vcc
	s_cbranch_execz .LBB0_5
; %bb.4:
	v_accvgpr_read_b32 v0, a5
	v_add_f64 v[102:103], v[102:103], v[120:121]
	v_add_f64 v[100:101], v[100:101], v[124:125]
	v_and_b32_e32 v0, 0xff, v0
	v_accvgpr_read_b32 v1, a4
	v_add_f64 v[102:103], v[102:103], v[122:123]
	v_add_f64 v[100:101], v[100:101], v[126:127]
	v_lshl_add_u32 v0, v0, 4, v1
	ds_write_b128 v0, v[100:103] offset:7488
	ds_write_b128 v0, v[92:95] offset:7696
	;; [unrolled: 1-line block ×3, first 2 shown]
.LBB0_5:
	s_or_b64 exec, exec, s[0:1]
	s_movk_i32 s0, 0xc0
	v_mov_b64_e32 v[100:101], s[10:11]
	v_mad_u64_u32 v[132:133], s[0:1], v200, s0, v[100:101]
	s_waitcnt lgkmcnt(0)
	s_barrier
	global_load_dwordx4 v[112:115], v[132:133], off offset:416
	global_load_dwordx4 v[108:111], v[132:133], off offset:432
	;; [unrolled: 1-line block ×11, first 2 shown]
	s_nop 0
	global_load_dwordx4 v[132:135], v[132:133], off offset:592
	ds_read_b128 v[186:189], v201
	ds_read_b128 v[148:151], v201 offset:624
	ds_read_b128 v[156:159], v201 offset:1248
	;; [unrolled: 1-line block ×12, first 2 shown]
	v_mov_b32_e32 v153, 0
	v_lshl_add_u64 v[172:173], s[8:9], 0, v[152:153]
	s_mov_b32 s18, 0x4267c47c
	s_mov_b32 s12, 0x42a4c3d2
	;; [unrolled: 1-line block ×33, first 2 shown]
	s_movk_i32 s0, 0x1000
	s_waitcnt vmcnt(11) lgkmcnt(11)
	v_mul_f64 v[182:183], v[150:151], v[114:115]
	s_waitcnt vmcnt(10) lgkmcnt(10)
	v_mul_f64 v[234:235], v[158:159], v[110:111]
	v_fma_f64 v[0:1], v[148:149], v[112:113], -v[182:183]
	v_mul_f64 v[198:199], v[148:149], v[114:115]
	s_waitcnt vmcnt(9) lgkmcnt(9)
	v_mul_f64 v[238:239], v[166:167], v[106:107]
	v_fma_f64 v[2:3], v[156:157], v[108:109], -v[234:235]
	v_add_f64 v[148:149], v[186:187], v[0:1]
	v_mul_f64 v[236:237], v[156:157], v[110:111]
	s_waitcnt vmcnt(8) lgkmcnt(8)
	v_mul_f64 v[240:241], v[176:177], v[102:103]
	v_fmac_f64_e32 v[198:199], v[150:151], v[112:113]
	v_fma_f64 v[182:183], v[164:165], v[104:105], -v[238:239]
	v_add_f64 v[148:149], v[148:149], v[2:3]
	v_mul_f64 v[178:179], v[164:165], v[106:107]
	v_mul_f64 v[168:169], v[174:175], v[102:103]
	s_waitcnt vmcnt(7) lgkmcnt(7)
	v_mul_f64 v[242:243], v[192:193], v[130:131]
	v_fmac_f64_e32 v[236:237], v[158:159], v[108:109]
	v_fma_f64 v[174:175], v[174:175], v[100:101], -v[240:241]
	v_add_f64 v[150:151], v[188:189], v[198:199]
	v_add_f64 v[148:149], v[148:149], v[182:183]
	s_waitcnt vmcnt(6) lgkmcnt(6)
	v_mul_f64 v[244:245], v[196:197], v[126:127]
	v_fmac_f64_e32 v[178:179], v[166:167], v[104:105]
	v_fma_f64 v[164:165], v[190:191], v[128:129], -v[242:243]
	v_add_f64 v[150:151], v[150:151], v[236:237]
	v_add_f64 v[148:149], v[148:149], v[174:175]
	v_mul_f64 v[160:161], v[190:191], v[130:131]
	s_waitcnt vmcnt(5) lgkmcnt(5)
	v_mul_f64 v[246:247], v[212:213], v[122:123]
	v_fmac_f64_e32 v[168:169], v[176:177], v[100:101]
	v_fma_f64 v[156:157], v[194:195], v[124:125], -v[244:245]
	v_add_f64 v[150:151], v[150:151], v[178:179]
	v_add_f64 v[148:149], v[148:149], v[164:165]
	v_mul_f64 v[152:153], v[194:195], v[126:127]
	;; [unrolled: 7-line block ×4, first 2 shown]
	s_waitcnt vmcnt(2) lgkmcnt(2)
	v_mul_f64 v[252:253], v[224:225], v[142:143]
	s_waitcnt vmcnt(0) lgkmcnt(0)
	v_mul_f64 v[206:207], v[232:233], v[134:135]
	v_fmac_f64_e32 v[154:155], v[212:213], v[120:121]
	v_fma_f64 v[176:177], v[218:219], v[144:145], -v[250:251]
	v_add_f64 v[150:151], v[150:151], v[152:153]
	v_add_f64 v[148:149], v[148:149], v[166:167]
	v_mul_f64 v[170:171], v[218:219], v[146:147]
	v_mul_f64 v[254:255], v[228:229], v[138:139]
	;; [unrolled: 1-line block ×3, first 2 shown]
	v_fmac_f64_e32 v[162:163], v[216:217], v[116:117]
	v_fma_f64 v[190:191], v[222:223], v[140:141], -v[252:253]
	v_fma_f64 v[194:195], v[230:231], v[132:133], -v[206:207]
	v_add_f64 v[150:151], v[150:151], v[154:155]
	v_add_f64 v[148:149], v[148:149], v[176:177]
	v_mul_f64 v[180:181], v[222:223], v[142:143]
	v_fmac_f64_e32 v[170:171], v[220:221], v[144:145]
	v_fma_f64 v[192:193], v[226:227], v[136:137], -v[254:255]
	v_fmac_f64_e32 v[208:209], v[232:233], v[132:133]
	v_add_f64 v[150:151], v[150:151], v[162:163]
	v_add_f64 v[148:149], v[148:149], v[190:191]
	v_add_f64 v[196:197], v[0:1], v[194:195]
	v_add_f64 v[0:1], v[0:1], -v[194:195]
	v_mul_f64 v[204:205], v[226:227], v[138:139]
	v_fmac_f64_e32 v[180:181], v[224:225], v[140:141]
	v_add_f64 v[150:151], v[150:151], v[170:171]
	v_add_f64 v[148:149], v[148:149], v[192:193]
	;; [unrolled: 1-line block ×3, first 2 shown]
	v_mul_f64 v[210:211], v[0:1], s[18:19]
	v_mul_f64 v[218:219], v[0:1], s[12:13]
	;; [unrolled: 1-line block ×6, first 2 shown]
	v_fmac_f64_e32 v[204:205], v[228:229], v[136:137]
	v_add_f64 v[150:151], v[150:151], v[180:181]
	v_add_f64 v[148:149], v[148:149], v[194:195]
	v_add_f64 v[194:195], v[198:199], -v[208:209]
	v_fma_f64 v[212:213], s[20:21], v[206:207], v[210:211]
	v_fma_f64 v[210:211], v[206:207], s[20:21], -v[210:211]
	v_fma_f64 v[220:221], s[14:15], v[206:207], v[218:219]
	v_fma_f64 v[218:219], v[206:207], s[14:15], -v[218:219]
	;; [unrolled: 2-line block ×6, first 2 shown]
	v_add_f64 v[150:151], v[150:151], v[204:205]
	v_mul_f64 v[198:199], v[194:195], s[18:19]
	v_add_f64 v[212:213], v[188:189], v[212:213]
	v_add_f64 v[210:211], v[188:189], v[210:211]
	v_mul_f64 v[214:215], v[194:195], s[12:13]
	v_add_f64 v[220:221], v[188:189], v[220:221]
	;; [unrolled: 3-line block ×6, first 2 shown]
	v_add_f64 v[0:1], v[188:189], v[0:1]
	v_add_f64 v[188:189], v[2:3], v[192:193]
	v_add_f64 v[2:3], v[2:3], -v[192:193]
	v_add_f64 v[192:193], v[236:237], -v[204:205]
	v_add_f64 v[150:151], v[150:151], v[208:209]
	v_fma_f64 v[208:209], v[196:197], s[20:21], -v[198:199]
	v_fmac_f64_e32 v[198:199], s[20:21], v[196:197]
	v_fma_f64 v[216:217], v[196:197], s[14:15], -v[214:215]
	v_fmac_f64_e32 v[214:215], s[14:15], v[196:197]
	;; [unrolled: 2-line block ×6, first 2 shown]
	v_mul_f64 v[196:197], v[192:193], s[12:13]
	v_add_f64 v[208:209], v[186:187], v[208:209]
	v_add_f64 v[198:199], v[186:187], v[198:199]
	;; [unrolled: 1-line block ×13, first 2 shown]
	v_fma_f64 v[204:205], v[188:189], s[14:15], -v[196:197]
	v_mul_f64 v[206:207], v[2:3], s[12:13]
	v_fmac_f64_e32 v[196:197], s[14:15], v[188:189]
	v_add_f64 v[204:205], v[204:205], v[208:209]
	v_fma_f64 v[208:209], s[14:15], v[194:195], v[206:207]
	v_add_f64 v[196:197], v[196:197], v[198:199]
	v_fma_f64 v[198:199], v[194:195], s[14:15], -v[206:207]
	v_mul_f64 v[206:207], v[192:193], s[16:17]
	v_add_f64 v[208:209], v[208:209], v[212:213]
	v_add_f64 v[198:199], v[198:199], v[210:211]
	v_fma_f64 v[210:211], v[188:189], s[22:23], -v[206:207]
	v_mul_f64 v[212:213], v[2:3], s[16:17]
	v_fmac_f64_e32 v[206:207], s[22:23], v[188:189]
	v_add_f64 v[210:211], v[210:211], v[216:217]
	v_fma_f64 v[216:217], s[22:23], v[194:195], v[212:213]
	v_add_f64 v[206:207], v[206:207], v[214:215]
	v_fma_f64 v[212:213], v[194:195], s[22:23], -v[212:213]
	v_mul_f64 v[214:215], v[192:193], s[30:31]
	v_add_f64 v[216:217], v[216:217], v[220:221]
	v_add_f64 v[212:213], v[212:213], v[218:219]
	;; [unrolled: 10-line block ×3, first 2 shown]
	v_fma_f64 v[226:227], v[188:189], s[26:27], -v[222:223]
	v_mul_f64 v[228:229], v[2:3], s[36:37]
	v_fmac_f64_e32 v[222:223], s[26:27], v[188:189]
	v_add_f64 v[226:227], v[226:227], v[232:233]
	v_fma_f64 v[232:233], s[26:27], v[194:195], v[228:229]
	v_add_f64 v[222:223], v[222:223], v[230:231]
	v_fma_f64 v[228:229], v[194:195], s[26:27], -v[228:229]
	v_mul_f64 v[230:231], v[192:193], s[28:29]
	v_add_f64 v[228:229], v[228:229], v[234:235]
	v_fma_f64 v[234:235], v[188:189], s[10:11], -v[230:231]
	v_mul_f64 v[236:237], v[2:3], s[28:29]
	v_fmac_f64_e32 v[230:231], s[10:11], v[188:189]
	v_mul_f64 v[192:193], v[192:193], s[40:41]
	v_mul_f64 v[2:3], v[2:3], s[40:41]
	v_add_f64 v[234:235], v[234:235], v[242:243]
	v_add_f64 v[230:231], v[230:231], v[240:241]
	v_fma_f64 v[240:241], v[188:189], s[20:21], -v[192:193]
	v_fma_f64 v[242:243], s[20:21], v[194:195], v[2:3]
	v_fmac_f64_e32 v[192:193], s[20:21], v[188:189]
	v_fma_f64 v[2:3], v[194:195], s[20:21], -v[2:3]
	v_add_f64 v[188:189], v[178:179], v[180:181]
	v_add_f64 v[178:179], v[178:179], -v[180:181]
	v_add_f64 v[0:1], v[2:3], v[0:1]
	v_add_f64 v[2:3], v[182:183], v[190:191]
	v_add_f64 v[182:183], v[182:183], -v[190:191]
	v_mul_f64 v[180:181], v[178:179], s[8:9]
	v_add_f64 v[186:187], v[192:193], v[186:187]
	v_fma_f64 v[190:191], v[2:3], s[10:11], -v[180:181]
	v_mul_f64 v[192:193], v[182:183], s[8:9]
	v_fmac_f64_e32 v[180:181], s[10:11], v[2:3]
	v_add_f64 v[232:233], v[232:233], v[238:239]
	v_fma_f64 v[238:239], s[10:11], v[194:195], v[236:237]
	v_fma_f64 v[236:237], v[194:195], s[10:11], -v[236:237]
	v_fma_f64 v[194:195], s[10:11], v[188:189], v[192:193]
	v_add_f64 v[180:181], v[180:181], v[196:197]
	v_fma_f64 v[192:193], v[188:189], s[10:11], -v[192:193]
	v_mul_f64 v[196:197], v[178:179], s[30:31]
	v_add_f64 v[192:193], v[192:193], v[198:199]
	v_fma_f64 v[198:199], v[2:3], s[34:35], -v[196:197]
	v_fmac_f64_e32 v[196:197], s[34:35], v[2:3]
	v_add_f64 v[190:191], v[190:191], v[204:205]
	v_mul_f64 v[204:205], v[182:183], s[30:31]
	v_add_f64 v[196:197], v[196:197], v[206:207]
	v_mul_f64 v[206:207], v[178:179], s[38:39]
	v_add_f64 v[194:195], v[194:195], v[208:209]
	v_add_f64 v[198:199], v[198:199], v[210:211]
	v_fma_f64 v[208:209], s[34:35], v[188:189], v[204:205]
	v_fma_f64 v[204:205], v[188:189], s[34:35], -v[204:205]
	v_fma_f64 v[210:211], v[2:3], s[22:23], -v[206:207]
	v_fmac_f64_e32 v[206:207], s[22:23], v[2:3]
	v_add_f64 v[204:205], v[204:205], v[212:213]
	v_mul_f64 v[212:213], v[182:183], s[38:39]
	v_add_f64 v[206:207], v[206:207], v[214:215]
	v_mul_f64 v[214:215], v[178:179], s[40:41]
	v_add_f64 v[208:209], v[208:209], v[216:217]
	v_add_f64 v[210:211], v[210:211], v[218:219]
	v_fma_f64 v[216:217], s[22:23], v[188:189], v[212:213]
	v_fma_f64 v[212:213], v[188:189], s[22:23], -v[212:213]
	;; [unrolled: 10-line block ×3, first 2 shown]
	v_fma_f64 v[226:227], v[2:3], s[14:15], -v[222:223]
	v_fmac_f64_e32 v[222:223], s[14:15], v[2:3]
	v_mul_f64 v[178:179], v[178:179], s[24:25]
	v_add_f64 v[220:221], v[220:221], v[228:229]
	v_mul_f64 v[228:229], v[182:183], s[12:13]
	v_add_f64 v[222:223], v[222:223], v[230:231]
	v_fma_f64 v[230:231], v[2:3], s[26:27], -v[178:179]
	v_mul_f64 v[182:183], v[182:183], s[24:25]
	v_fmac_f64_e32 v[178:179], s[26:27], v[2:3]
	v_add_f64 v[226:227], v[226:227], v[234:235]
	v_fma_f64 v[234:235], s[26:27], v[188:189], v[182:183]
	v_add_f64 v[2:3], v[178:179], v[186:187]
	v_fma_f64 v[178:179], v[188:189], s[26:27], -v[182:183]
	v_add_f64 v[182:183], v[168:169], v[170:171]
	v_add_f64 v[168:169], v[168:169], -v[170:171]
	v_add_f64 v[0:1], v[178:179], v[0:1]
	v_add_f64 v[178:179], v[174:175], v[176:177]
	v_add_f64 v[174:175], v[174:175], -v[176:177]
	v_mul_f64 v[170:171], v[168:169], s[16:17]
	v_fma_f64 v[176:177], v[178:179], s[22:23], -v[170:171]
	v_mul_f64 v[186:187], v[174:175], s[16:17]
	v_fmac_f64_e32 v[170:171], s[22:23], v[178:179]
	v_add_f64 v[224:225], v[224:225], v[232:233]
	v_fma_f64 v[232:233], s[14:15], v[188:189], v[228:229]
	v_fma_f64 v[228:229], v[188:189], s[14:15], -v[228:229]
	v_fma_f64 v[188:189], s[22:23], v[182:183], v[186:187]
	v_add_f64 v[170:171], v[170:171], v[180:181]
	v_fma_f64 v[180:181], v[182:183], s[22:23], -v[186:187]
	v_mul_f64 v[186:187], v[168:169], s[36:37]
	v_add_f64 v[176:177], v[176:177], v[190:191]
	v_fma_f64 v[190:191], v[178:179], s[26:27], -v[186:187]
	v_fmac_f64_e32 v[186:187], s[26:27], v[178:179]
	v_add_f64 v[180:181], v[180:181], v[192:193]
	v_mul_f64 v[192:193], v[174:175], s[36:37]
	v_add_f64 v[186:187], v[186:187], v[196:197]
	v_mul_f64 v[196:197], v[168:169], s[40:41]
	v_add_f64 v[188:189], v[188:189], v[194:195]
	v_add_f64 v[190:191], v[190:191], v[198:199]
	v_fma_f64 v[194:195], s[26:27], v[182:183], v[192:193]
	v_fma_f64 v[192:193], v[182:183], s[26:27], -v[192:193]
	v_fma_f64 v[198:199], v[178:179], s[20:21], -v[196:197]
	v_fmac_f64_e32 v[196:197], s[20:21], v[178:179]
	v_add_f64 v[192:193], v[192:193], v[204:205]
	v_mul_f64 v[204:205], v[174:175], s[40:41]
	v_add_f64 v[196:197], v[196:197], v[206:207]
	v_mul_f64 v[206:207], v[168:169], s[8:9]
	v_add_f64 v[194:195], v[194:195], v[208:209]
	v_add_f64 v[198:199], v[198:199], v[210:211]
	v_fma_f64 v[208:209], s[20:21], v[182:183], v[204:205]
	v_fma_f64 v[204:205], v[182:183], s[20:21], -v[204:205]
	;; [unrolled: 10-line block ×3, first 2 shown]
	v_fma_f64 v[218:219], v[178:179], s[34:35], -v[214:215]
	v_fmac_f64_e32 v[214:215], s[34:35], v[178:179]
	v_mul_f64 v[168:169], v[168:169], s[42:43]
	v_add_f64 v[212:213], v[212:213], v[220:221]
	v_mul_f64 v[220:221], v[174:175], s[44:45]
	v_add_f64 v[214:215], v[214:215], v[222:223]
	v_fma_f64 v[222:223], v[178:179], s[14:15], -v[168:169]
	v_mul_f64 v[174:175], v[174:175], s[42:43]
	v_fmac_f64_e32 v[168:169], s[14:15], v[178:179]
	v_add_f64 v[218:219], v[218:219], v[226:227]
	v_fma_f64 v[226:227], s[14:15], v[182:183], v[174:175]
	v_add_f64 v[2:3], v[168:169], v[2:3]
	v_fma_f64 v[168:169], v[182:183], s[14:15], -v[174:175]
	v_add_f64 v[174:175], v[160:161], v[162:163]
	v_add_f64 v[160:161], v[160:161], -v[162:163]
	v_add_f64 v[0:1], v[168:169], v[0:1]
	v_add_f64 v[168:169], v[164:165], v[166:167]
	v_mul_f64 v[162:163], v[160:161], s[24:25]
	v_add_f64 v[164:165], v[164:165], -v[166:167]
	v_fma_f64 v[166:167], v[168:169], s[26:27], -v[162:163]
	v_add_f64 v[166:167], v[166:167], v[176:177]
	v_mul_f64 v[176:177], v[164:165], s[24:25]
	v_fmac_f64_e32 v[162:163], s[26:27], v[168:169]
	v_fma_f64 v[178:179], s[26:27], v[174:175], v[176:177]
	v_add_f64 v[162:163], v[162:163], v[170:171]
	v_fma_f64 v[170:171], v[174:175], s[26:27], -v[176:177]
	v_mul_f64 v[176:177], v[160:161], s[28:29]
	v_add_f64 v[216:217], v[216:217], v[224:225]
	v_fma_f64 v[224:225], s[34:35], v[182:183], v[220:221]
	v_fma_f64 v[220:221], v[182:183], s[34:35], -v[220:221]
	v_add_f64 v[170:171], v[170:171], v[180:181]
	v_fma_f64 v[180:181], v[168:169], s[10:11], -v[176:177]
	v_mul_f64 v[182:183], v[164:165], s[28:29]
	v_fmac_f64_e32 v[176:177], s[10:11], v[168:169]
	v_add_f64 v[178:179], v[178:179], v[188:189]
	v_fma_f64 v[188:189], s[10:11], v[174:175], v[182:183]
	v_add_f64 v[176:177], v[176:177], v[186:187]
	v_fma_f64 v[182:183], v[174:175], s[10:11], -v[182:183]
	v_mul_f64 v[186:187], v[160:161], s[12:13]
	v_add_f64 v[180:181], v[180:181], v[190:191]
	v_add_f64 v[182:183], v[182:183], v[192:193]
	v_fma_f64 v[190:191], v[168:169], s[14:15], -v[186:187]
	v_mul_f64 v[192:193], v[164:165], s[12:13]
	v_fmac_f64_e32 v[186:187], s[14:15], v[168:169]
	v_add_f64 v[188:189], v[188:189], v[194:195]
	v_fma_f64 v[194:195], s[14:15], v[174:175], v[192:193]
	v_add_f64 v[186:187], v[186:187], v[196:197]
	v_fma_f64 v[192:193], v[174:175], s[14:15], -v[192:193]
	v_mul_f64 v[196:197], v[160:161], s[44:45]
	v_add_f64 v[190:191], v[190:191], v[198:199]
	v_add_f64 v[192:193], v[192:193], v[204:205]
	v_fma_f64 v[198:199], v[168:169], s[34:35], -v[196:197]
	v_mul_f64 v[204:205], v[164:165], s[44:45]
	v_fmac_f64_e32 v[196:197], s[34:35], v[168:169]
	v_add_f64 v[242:243], v[242:243], v[250:251]
	v_add_f64 v[194:195], v[194:195], v[208:209]
	v_fma_f64 v[208:209], s[34:35], v[174:175], v[204:205]
	v_add_f64 v[196:197], v[196:197], v[206:207]
	v_fma_f64 v[204:205], v[174:175], s[34:35], -v[204:205]
	v_mul_f64 v[206:207], v[160:161], s[40:41]
	v_add_f64 v[238:239], v[238:239], v[246:247]
	v_add_f64 v[236:237], v[236:237], v[244:245]
	;; [unrolled: 1-line block ×5, first 2 shown]
	v_fma_f64 v[210:211], v[168:169], s[20:21], -v[206:207]
	v_mul_f64 v[212:213], v[164:165], s[40:41]
	v_mul_f64 v[164:165], v[164:165], s[16:17]
	v_add_f64 v[240:241], v[240:241], v[248:249]
	v_add_f64 v[232:233], v[232:233], v[238:239]
	;; [unrolled: 1-line block ×5, first 2 shown]
	v_fma_f64 v[218:219], s[22:23], v[174:175], v[164:165]
	v_add_f64 v[230:231], v[230:231], v[240:241]
	v_add_f64 v[224:225], v[224:225], v[232:233]
	;; [unrolled: 1-line block ×4, first 2 shown]
	v_fma_f64 v[216:217], s[20:21], v[174:175], v[212:213]
	v_fmac_f64_e32 v[206:207], s[20:21], v[168:169]
	v_fma_f64 v[212:213], v[174:175], s[20:21], -v[212:213]
	v_mul_f64 v[160:161], v[160:161], s[16:17]
	v_add_f64 v[218:219], v[218:219], v[226:227]
	v_add_f64 v[226:227], v[152:153], -v[154:155]
	v_add_f64 v[222:223], v[222:223], v[230:231]
	v_add_f64 v[216:217], v[216:217], v[224:225]
	;; [unrolled: 1-line block ×4, first 2 shown]
	v_fma_f64 v[214:215], v[168:169], s[22:23], -v[160:161]
	v_add_f64 v[220:221], v[156:157], v[158:159]
	v_add_f64 v[224:225], v[156:157], -v[158:159]
	v_mul_f64 v[156:157], v[226:227], s[30:31]
	v_add_f64 v[214:215], v[214:215], v[222:223]
	v_add_f64 v[222:223], v[152:153], v[154:155]
	v_fma_f64 v[152:153], v[220:221], s[34:35], -v[156:157]
	v_add_f64 v[152:153], v[152:153], v[166:167]
	v_fmac_f64_e32 v[156:157], s[34:35], v[220:221]
	v_mul_f64 v[166:167], v[224:225], s[40:41]
	v_fmac_f64_e32 v[160:161], s[22:23], v[168:169]
	v_mul_f64 v[158:159], v[224:225], s[30:31]
	v_add_f64 v[156:157], v[156:157], v[162:163]
	v_fma_f64 v[162:163], s[20:21], v[222:223], v[166:167]
	v_fma_f64 v[166:167], v[222:223], s[20:21], -v[166:167]
	v_add_f64 v[2:3], v[160:161], v[2:3]
	v_fma_f64 v[160:161], v[174:175], s[22:23], -v[164:165]
	v_fma_f64 v[154:155], s[34:35], v[222:223], v[158:159]
	v_add_f64 v[166:167], v[166:167], v[182:183]
	v_mul_f64 v[174:175], v[226:227], s[24:25]
	v_mul_f64 v[182:183], v[226:227], s[42:43]
	v_add_f64 v[154:155], v[154:155], v[178:179]
	v_mul_f64 v[164:165], v[226:227], s[40:41]
	v_add_f64 v[162:163], v[162:163], v[188:189]
	v_fma_f64 v[168:169], v[220:221], s[26:27], -v[174:175]
	v_fmac_f64_e32 v[174:175], s[26:27], v[220:221]
	v_fma_f64 v[178:179], v[220:221], s[14:15], -v[182:183]
	v_mul_f64 v[188:189], v[224:225], s[42:43]
	v_fmac_f64_e32 v[182:183], s[14:15], v[220:221]
	v_add_f64 v[0:1], v[160:161], v[0:1]
	v_fma_f64 v[160:161], v[220:221], s[20:21], -v[164:165]
	v_fmac_f64_e32 v[164:165], s[20:21], v[220:221]
	v_add_f64 v[174:175], v[174:175], v[186:187]
	v_add_f64 v[186:187], v[182:183], v[196:197]
	v_fma_f64 v[182:183], v[222:223], s[14:15], -v[188:189]
	v_fma_f64 v[158:159], v[222:223], s[34:35], -v[158:159]
	v_add_f64 v[160:161], v[160:161], v[180:181]
	v_add_f64 v[164:165], v[164:165], v[176:177]
	v_mul_f64 v[176:177], v[224:225], s[24:25]
	v_fma_f64 v[180:181], s[14:15], v[222:223], v[188:189]
	v_add_f64 v[188:189], v[182:183], v[204:205]
	v_mul_f64 v[182:183], v[226:227], s[16:17]
	v_add_f64 v[158:159], v[158:159], v[170:171]
	v_add_f64 v[168:169], v[168:169], v[190:191]
	v_fma_f64 v[170:171], s[26:27], v[222:223], v[176:177]
	v_fma_f64 v[190:191], v[220:221], s[22:23], -v[182:183]
	v_mul_f64 v[196:197], v[224:225], s[16:17]
	v_fmac_f64_e32 v[182:183], s[22:23], v[220:221]
	v_add_f64 v[170:171], v[170:171], v[194:195]
	v_fma_f64 v[176:177], v[222:223], s[26:27], -v[176:177]
	v_add_f64 v[194:195], v[182:183], v[206:207]
	v_fma_f64 v[182:183], v[222:223], s[22:23], -v[196:197]
	v_add_f64 v[176:177], v[176:177], v[192:193]
	v_fma_f64 v[192:193], s[22:23], v[222:223], v[196:197]
	v_add_f64 v[196:197], v[182:183], v[212:213]
	v_mul_f64 v[182:183], v[226:227], s[28:29]
	v_add_f64 v[178:179], v[178:179], v[198:199]
	v_fma_f64 v[198:199], v[220:221], s[10:11], -v[182:183]
	v_add_f64 v[190:191], v[190:191], v[210:211]
	v_add_f64 v[210:211], v[198:199], v[214:215]
	v_mul_f64 v[198:199], v[224:225], s[28:29]
	v_fmac_f64_e32 v[182:183], s[10:11], v[220:221]
	v_add_f64 v[214:215], v[182:183], v[2:3]
	v_fma_f64 v[2:3], v[222:223], s[10:11], -v[198:199]
	v_add_f64 v[192:193], v[192:193], v[216:217]
	v_add_f64 v[216:217], v[2:3], v[0:1]
	v_add_co_u32_e64 v0, s[0:1], s0, v172
	v_fma_f64 v[204:205], s[10:11], v[222:223], v[198:199]
	s_nop 0
	v_addc_co_u32_e64 v1, s[0:1], 0, v173, s[0:1]
	v_add_f64 v[180:181], v[180:181], v[208:209]
	v_add_f64 v[212:213], v[204:205], v[218:219]
	ds_write_b128 v201, v[148:151]
	ds_write_b128 v201, v[152:155] offset:624
	ds_write_b128 v201, v[160:163] offset:1248
	;; [unrolled: 1-line block ×12, first 2 shown]
	s_waitcnt lgkmcnt(0)
	s_barrier
	global_load_dwordx4 v[148:151], v[0:1], off offset:4016
	s_mov_b64 s[0:1], 0x1fb0
	v_lshl_add_u64 v[0:1], v[172:173], 0, s[0:1]
	global_load_dwordx4 v[152:155], v[0:1], off offset:624
	global_load_dwordx4 v[156:159], v[0:1], off offset:1248
	;; [unrolled: 1-line block ×6, first 2 shown]
	s_movk_i32 s0, 0x3000
	v_add_co_u32_e64 v0, s[0:1], s0, v172
	s_nop 1
	v_addc_co_u32_e64 v1, s[0:1], 0, v173, s[0:1]
	global_load_dwordx4 v[178:181], v[0:1], off offset:192
	global_load_dwordx4 v[186:189], v[0:1], off offset:816
	global_load_dwordx4 v[190:193], v[0:1], off offset:1440
	global_load_dwordx4 v[194:197], v[0:1], off offset:2064
	global_load_dwordx4 v[210:213], v[0:1], off offset:2688
	global_load_dwordx4 v[214:217], v[0:1], off offset:3312
	ds_read_b128 v[218:221], v201
	ds_read_b128 v[222:225], v201 offset:624
	s_waitcnt vmcnt(12) lgkmcnt(1)
	v_mul_f64 v[0:1], v[220:221], v[150:151]
	v_mul_f64 v[228:229], v[218:219], v[150:151]
	v_fma_f64 v[226:227], v[218:219], v[148:149], -v[0:1]
	v_fmac_f64_e32 v[228:229], v[220:221], v[148:149]
	ds_read_b128 v[218:221], v201 offset:1248
	s_waitcnt vmcnt(11) lgkmcnt(1)
	v_mul_f64 v[0:1], v[224:225], v[154:155]
	v_mul_f64 v[150:151], v[222:223], v[154:155]
	v_fma_f64 v[148:149], v[222:223], v[152:153], -v[0:1]
	v_fmac_f64_e32 v[150:151], v[224:225], v[152:153]
	ds_write_b128 v201, v[148:151] offset:624
	ds_read_b128 v[148:151], v201 offset:1872
	s_waitcnt vmcnt(10) lgkmcnt(2)
	v_mul_f64 v[0:1], v[220:221], v[158:159]
	v_mul_f64 v[154:155], v[218:219], v[158:159]
	v_fma_f64 v[152:153], v[218:219], v[156:157], -v[0:1]
	v_fmac_f64_e32 v[154:155], v[220:221], v[156:157]
	ds_read_b128 v[156:159], v201 offset:2496
	ds_write_b128 v201, v[152:155] offset:1248
	s_waitcnt vmcnt(9) lgkmcnt(2)
	v_mul_f64 v[0:1], v[150:151], v[162:163]
	v_mul_f64 v[154:155], v[148:149], v[162:163]
	v_fma_f64 v[152:153], v[148:149], v[160:161], -v[0:1]
	v_fmac_f64_e32 v[154:155], v[150:151], v[160:161]
	ds_read_b128 v[148:151], v201 offset:3120
	ds_write_b128 v201, v[152:155] offset:1872
	;; [unrolled: 7-line block ×8, first 2 shown]
	s_waitcnt vmcnt(2) lgkmcnt(3)
	v_mul_f64 v[0:1], v[158:159], v[196:197]
	v_mul_f64 v[154:155], v[156:157], v[196:197]
	v_fma_f64 v[152:153], v[156:157], v[194:195], -v[0:1]
	v_fmac_f64_e32 v[154:155], v[158:159], v[194:195]
	ds_write_b128 v201, v[152:155] offset:6240
	ds_read_b128 v[152:155], v201 offset:7488
	s_waitcnt vmcnt(1) lgkmcnt(3)
	v_mul_f64 v[0:1], v[150:151], v[212:213]
	v_mul_f64 v[158:159], v[148:149], v[212:213]
	v_fma_f64 v[156:157], v[148:149], v[210:211], -v[0:1]
	v_fmac_f64_e32 v[158:159], v[150:151], v[210:211]
	s_waitcnt vmcnt(0) lgkmcnt(0)
	v_mul_f64 v[0:1], v[154:155], v[216:217]
	v_mul_f64 v[150:151], v[152:153], v[216:217]
	v_fma_f64 v[148:149], v[152:153], v[214:215], -v[0:1]
	v_fmac_f64_e32 v[150:151], v[154:155], v[214:215]
	ds_write_b128 v201, v[226:229]
	ds_write_b128 v201, v[156:159] offset:6864
	ds_write_b128 v201, v[148:151] offset:7488
	s_waitcnt lgkmcnt(0)
	s_barrier
	ds_read_b128 v[180:183], v201
	ds_read_b128 v[186:189], v201 offset:624
	ds_read_b128 v[190:193], v201 offset:1248
	;; [unrolled: 1-line block ×12, first 2 shown]
	s_waitcnt lgkmcnt(11)
	v_add_f64 v[2:3], v[182:183], v[188:189]
	v_add_f64 v[0:1], v[180:181], v[186:187]
	s_waitcnt lgkmcnt(10)
	v_add_f64 v[2:3], v[2:3], v[192:193]
	v_add_f64 v[0:1], v[0:1], v[190:191]
	;; [unrolled: 3-line block ×12, first 2 shown]
	v_add_f64 v[188:189], v[188:189], -v[216:217]
	v_add_f64 v[152:153], v[0:1], v[214:215]
	v_add_f64 v[0:1], v[186:187], v[214:215]
	v_add_f64 v[186:187], v[186:187], -v[214:215]
	v_mul_f64 v[198:199], v[188:189], s[18:19]
	v_mul_f64 v[214:215], v[188:189], s[12:13]
	;; [unrolled: 1-line block ×6, first 2 shown]
	v_fma_f64 v[204:205], s[20:21], v[0:1], v[198:199]
	v_mul_f64 v[206:207], v[2:3], s[20:21]
	v_fma_f64 v[198:199], v[0:1], s[20:21], -v[198:199]
	v_fma_f64 v[216:217], s[14:15], v[0:1], v[214:215]
	v_mul_f64 v[218:219], v[2:3], s[14:15]
	v_fma_f64 v[214:215], v[0:1], s[14:15], -v[214:215]
	;; [unrolled: 3-line block ×6, first 2 shown]
	v_add_f64 v[188:189], v[192:193], -v[212:213]
	v_add_f64 v[204:205], v[180:181], v[204:205]
	v_fma_f64 v[208:209], s[40:41], v[186:187], v[206:207]
	v_add_f64 v[198:199], v[180:181], v[198:199]
	v_fmac_f64_e32 v[206:207], s[18:19], v[186:187]
	v_add_f64 v[216:217], v[180:181], v[216:217]
	v_fma_f64 v[220:221], s[42:43], v[186:187], v[218:219]
	v_add_f64 v[214:215], v[180:181], v[214:215]
	v_fmac_f64_e32 v[218:219], s[12:13], v[186:187]
	;; [unrolled: 4-line block ×6, first 2 shown]
	v_add_f64 v[180:181], v[190:191], v[210:211]
	v_add_f64 v[186:187], v[190:191], -v[210:211]
	v_mul_f64 v[190:191], v[188:189], s[12:13]
	v_add_f64 v[208:209], v[182:183], v[208:209]
	v_add_f64 v[206:207], v[182:183], v[206:207]
	;; [unrolled: 1-line block ×13, first 2 shown]
	v_fma_f64 v[192:193], s[14:15], v[180:181], v[190:191]
	v_add_f64 v[192:193], v[192:193], v[204:205]
	v_mul_f64 v[204:205], v[182:183], s[14:15]
	v_fma_f64 v[210:211], s[42:43], v[186:187], v[204:205]
	v_fma_f64 v[190:191], v[180:181], s[14:15], -v[190:191]
	v_fmac_f64_e32 v[204:205], s[12:13], v[186:187]
	v_add_f64 v[190:191], v[190:191], v[198:199]
	v_add_f64 v[198:199], v[204:205], v[206:207]
	v_mul_f64 v[204:205], v[188:189], s[16:17]
	v_add_f64 v[208:209], v[210:211], v[208:209]
	v_fma_f64 v[206:207], s[22:23], v[180:181], v[204:205]
	v_mul_f64 v[210:211], v[182:183], s[22:23]
	v_fma_f64 v[204:205], v[180:181], s[22:23], -v[204:205]
	v_fma_f64 v[212:213], s[38:39], v[186:187], v[210:211]
	v_add_f64 v[204:205], v[204:205], v[214:215]
	v_fmac_f64_e32 v[210:211], s[16:17], v[186:187]
	v_mul_f64 v[214:215], v[188:189], s[30:31]
	v_add_f64 v[206:207], v[206:207], v[216:217]
	v_add_f64 v[210:211], v[210:211], v[218:219]
	v_fma_f64 v[216:217], s[34:35], v[180:181], v[214:215]
	v_mul_f64 v[218:219], v[182:183], s[34:35]
	v_fma_f64 v[214:215], v[180:181], s[34:35], -v[214:215]
	v_add_f64 v[212:213], v[212:213], v[220:221]
	v_fma_f64 v[220:221], s[44:45], v[186:187], v[218:219]
	v_add_f64 v[214:215], v[214:215], v[222:223]
	v_fmac_f64_e32 v[218:219], s[30:31], v[186:187]
	v_mul_f64 v[222:223], v[188:189], s[36:37]
	v_add_f64 v[216:217], v[216:217], v[224:225]
	v_add_f64 v[218:219], v[218:219], v[226:227]
	v_fma_f64 v[224:225], s[26:27], v[180:181], v[222:223]
	v_mul_f64 v[226:227], v[182:183], s[26:27]
	v_fma_f64 v[222:223], v[180:181], s[26:27], -v[222:223]
	v_add_f64 v[220:221], v[220:221], v[228:229]
	v_fma_f64 v[228:229], s[24:25], v[186:187], v[226:227]
	v_add_f64 v[222:223], v[222:223], v[230:231]
	v_fmac_f64_e32 v[226:227], s[36:37], v[186:187]
	v_mul_f64 v[230:231], v[188:189], s[28:29]
	v_add_f64 v[224:225], v[224:225], v[232:233]
	v_add_f64 v[226:227], v[226:227], v[234:235]
	v_fma_f64 v[232:233], s[10:11], v[180:181], v[230:231]
	v_mul_f64 v[234:235], v[182:183], s[10:11]
	v_mul_f64 v[182:183], v[182:183], s[20:21]
	v_add_f64 v[232:233], v[232:233], v[240:241]
	v_fma_f64 v[230:231], v[180:181], s[10:11], -v[230:231]
	v_mul_f64 v[188:189], v[188:189], s[40:41]
	v_fma_f64 v[240:241], s[18:19], v[186:187], v[182:183]
	v_fmac_f64_e32 v[182:183], s[40:41], v[186:187]
	v_add_f64 v[230:231], v[230:231], v[238:239]
	v_fma_f64 v[238:239], s[20:21], v[180:181], v[188:189]
	v_fma_f64 v[180:181], v[180:181], s[20:21], -v[188:189]
	v_add_f64 v[2:3], v[182:183], v[2:3]
	v_add_f64 v[182:183], v[178:179], v[196:197]
	v_add_f64 v[178:179], v[178:179], -v[196:197]
	v_add_f64 v[228:229], v[228:229], v[236:237]
	v_fma_f64 v[236:237], s[8:9], v[186:187], v[234:235]
	v_fmac_f64_e32 v[234:235], s[28:29], v[186:187]
	v_add_f64 v[0:1], v[180:181], v[0:1]
	v_add_f64 v[180:181], v[176:177], v[194:195]
	v_mul_f64 v[186:187], v[178:179], s[8:9]
	v_fma_f64 v[188:189], s[10:11], v[180:181], v[186:187]
	v_add_f64 v[176:177], v[176:177], -v[194:195]
	v_add_f64 v[188:189], v[188:189], v[192:193]
	v_mul_f64 v[192:193], v[182:183], s[10:11]
	v_fma_f64 v[194:195], s[28:29], v[176:177], v[192:193]
	v_fma_f64 v[186:187], v[180:181], s[10:11], -v[186:187]
	v_fmac_f64_e32 v[192:193], s[8:9], v[176:177]
	v_add_f64 v[186:187], v[186:187], v[190:191]
	v_add_f64 v[190:191], v[192:193], v[198:199]
	v_mul_f64 v[192:193], v[178:179], s[30:31]
	v_fma_f64 v[196:197], s[34:35], v[180:181], v[192:193]
	v_fma_f64 v[192:193], v[180:181], s[34:35], -v[192:193]
	v_add_f64 v[192:193], v[192:193], v[204:205]
	v_mul_f64 v[204:205], v[178:179], s[38:39]
	v_add_f64 v[194:195], v[194:195], v[208:209]
	v_mul_f64 v[198:199], v[182:183], s[34:35]
	v_fma_f64 v[208:209], s[22:23], v[180:181], v[204:205]
	v_fma_f64 v[204:205], v[180:181], s[22:23], -v[204:205]
	v_add_f64 v[196:197], v[196:197], v[206:207]
	v_fma_f64 v[206:207], s[44:45], v[176:177], v[198:199]
	v_fmac_f64_e32 v[198:199], s[30:31], v[176:177]
	v_add_f64 v[204:205], v[204:205], v[214:215]
	v_mul_f64 v[214:215], v[178:179], s[40:41]
	v_add_f64 v[198:199], v[198:199], v[210:211]
	v_add_f64 v[208:209], v[208:209], v[216:217]
	v_mul_f64 v[210:211], v[182:183], s[22:23]
	v_fma_f64 v[216:217], s[20:21], v[180:181], v[214:215]
	v_fma_f64 v[214:215], v[180:181], s[20:21], -v[214:215]
	v_add_f64 v[206:207], v[206:207], v[212:213]
	v_fma_f64 v[212:213], s[16:17], v[176:177], v[210:211]
	v_fmac_f64_e32 v[210:211], s[38:39], v[176:177]
	v_add_f64 v[214:215], v[214:215], v[222:223]
	v_mul_f64 v[222:223], v[178:179], s[12:13]
	v_add_f64 v[210:211], v[210:211], v[218:219]
	v_add_f64 v[216:217], v[216:217], v[224:225]
	v_mul_f64 v[218:219], v[182:183], s[20:21]
	v_fma_f64 v[224:225], s[14:15], v[180:181], v[222:223]
	v_fma_f64 v[222:223], v[180:181], s[14:15], -v[222:223]
	v_mul_f64 v[178:179], v[178:179], s[24:25]
	v_add_f64 v[212:213], v[212:213], v[220:221]
	v_fma_f64 v[220:221], s[18:19], v[176:177], v[218:219]
	v_fmac_f64_e32 v[218:219], s[40:41], v[176:177]
	v_add_f64 v[222:223], v[222:223], v[230:231]
	v_fma_f64 v[230:231], s[26:27], v[180:181], v[178:179]
	v_fma_f64 v[178:179], v[180:181], s[26:27], -v[178:179]
	v_add_f64 v[218:219], v[218:219], v[226:227]
	v_mul_f64 v[226:227], v[182:183], s[14:15]
	v_mul_f64 v[182:183], v[182:183], s[26:27]
	v_add_f64 v[0:1], v[178:179], v[0:1]
	v_add_f64 v[178:179], v[170:171], v[174:175]
	v_add_f64 v[170:171], v[170:171], -v[174:175]
	v_add_f64 v[220:221], v[220:221], v[228:229]
	v_add_f64 v[224:225], v[224:225], v[232:233]
	v_fma_f64 v[228:229], s[42:43], v[176:177], v[226:227]
	v_fmac_f64_e32 v[226:227], s[12:13], v[176:177]
	v_fma_f64 v[232:233], s[36:37], v[176:177], v[182:183]
	v_fmac_f64_e32 v[182:183], s[24:25], v[176:177]
	v_add_f64 v[176:177], v[168:169], v[172:173]
	v_add_f64 v[168:169], v[168:169], -v[172:173]
	v_mul_f64 v[172:173], v[170:171], s[16:17]
	v_fma_f64 v[174:175], s[22:23], v[176:177], v[172:173]
	v_fma_f64 v[172:173], v[176:177], s[22:23], -v[172:173]
	v_add_f64 v[172:173], v[172:173], v[186:187]
	v_mul_f64 v[186:187], v[170:171], s[36:37]
	v_add_f64 v[174:175], v[174:175], v[188:189]
	v_mul_f64 v[180:181], v[178:179], s[22:23]
	v_fma_f64 v[188:189], s[26:27], v[176:177], v[186:187]
	v_fma_f64 v[186:187], v[176:177], s[26:27], -v[186:187]
	v_add_f64 v[2:3], v[182:183], v[2:3]
	v_fma_f64 v[182:183], s[38:39], v[168:169], v[180:181]
	v_fmac_f64_e32 v[180:181], s[16:17], v[168:169]
	v_add_f64 v[186:187], v[186:187], v[192:193]
	v_mul_f64 v[192:193], v[170:171], s[40:41]
	v_add_f64 v[180:181], v[180:181], v[190:191]
	v_add_f64 v[188:189], v[188:189], v[196:197]
	v_mul_f64 v[190:191], v[178:179], s[26:27]
	v_fma_f64 v[196:197], s[20:21], v[176:177], v[192:193]
	v_fma_f64 v[192:193], v[176:177], s[20:21], -v[192:193]
	v_add_f64 v[182:183], v[182:183], v[194:195]
	v_fma_f64 v[194:195], s[24:25], v[168:169], v[190:191]
	v_fmac_f64_e32 v[190:191], s[36:37], v[168:169]
	v_add_f64 v[192:193], v[192:193], v[204:205]
	v_mul_f64 v[204:205], v[170:171], s[8:9]
	v_add_f64 v[190:191], v[190:191], v[198:199]
	;; [unrolled: 10-line block ×3, first 2 shown]
	v_add_f64 v[208:209], v[208:209], v[216:217]
	v_mul_f64 v[210:211], v[178:179], s[10:11]
	v_fma_f64 v[216:217], s[34:35], v[176:177], v[214:215]
	v_fma_f64 v[214:215], v[176:177], s[34:35], -v[214:215]
	v_mul_f64 v[170:171], v[170:171], s[42:43]
	v_add_f64 v[206:207], v[206:207], v[212:213]
	v_fma_f64 v[212:213], s[28:29], v[168:169], v[210:211]
	v_fmac_f64_e32 v[210:211], s[8:9], v[168:169]
	v_add_f64 v[214:215], v[214:215], v[222:223]
	v_fma_f64 v[222:223], s[14:15], v[176:177], v[170:171]
	v_fma_f64 v[170:171], v[176:177], s[14:15], -v[170:171]
	v_add_f64 v[210:211], v[210:211], v[218:219]
	v_mul_f64 v[218:219], v[178:179], s[34:35]
	v_mul_f64 v[178:179], v[178:179], s[14:15]
	v_add_f64 v[0:1], v[170:171], v[0:1]
	v_add_f64 v[170:171], v[162:163], v[166:167]
	v_add_f64 v[162:163], v[162:163], -v[166:167]
	v_add_f64 v[212:213], v[212:213], v[220:221]
	v_add_f64 v[216:217], v[216:217], v[224:225]
	v_fma_f64 v[220:221], s[30:31], v[168:169], v[218:219]
	v_fmac_f64_e32 v[218:219], s[44:45], v[168:169]
	v_fma_f64 v[224:225], s[12:13], v[168:169], v[178:179]
	v_fmac_f64_e32 v[178:179], s[42:43], v[168:169]
	v_add_f64 v[168:169], v[160:161], v[164:165]
	v_add_f64 v[160:161], v[160:161], -v[164:165]
	v_mul_f64 v[164:165], v[162:163], s[24:25]
	v_fma_f64 v[166:167], s[26:27], v[168:169], v[164:165]
	v_add_f64 v[166:167], v[166:167], v[174:175]
	v_mul_f64 v[174:175], v[170:171], s[26:27]
	v_fma_f64 v[176:177], s[36:37], v[160:161], v[174:175]
	v_fma_f64 v[164:165], v[168:169], s[26:27], -v[164:165]
	v_fmac_f64_e32 v[174:175], s[24:25], v[160:161]
	v_add_f64 v[164:165], v[164:165], v[172:173]
	v_add_f64 v[172:173], v[174:175], v[180:181]
	v_mul_f64 v[174:175], v[162:163], s[28:29]
	v_add_f64 v[2:3], v[178:179], v[2:3]
	v_fma_f64 v[178:179], s[10:11], v[168:169], v[174:175]
	v_mul_f64 v[180:181], v[170:171], s[10:11]
	v_fma_f64 v[174:175], v[168:169], s[10:11], -v[174:175]
	v_add_f64 v[176:177], v[176:177], v[182:183]
	v_fma_f64 v[182:183], s[8:9], v[160:161], v[180:181]
	v_add_f64 v[174:175], v[174:175], v[186:187]
	v_fmac_f64_e32 v[180:181], s[28:29], v[160:161]
	v_mul_f64 v[186:187], v[162:163], s[12:13]
	v_add_f64 v[178:179], v[178:179], v[188:189]
	v_add_f64 v[180:181], v[180:181], v[190:191]
	v_fma_f64 v[188:189], s[14:15], v[168:169], v[186:187]
	v_mul_f64 v[190:191], v[170:171], s[14:15]
	v_fma_f64 v[186:187], v[168:169], s[14:15], -v[186:187]
	v_add_f64 v[182:183], v[182:183], v[194:195]
	v_fma_f64 v[194:195], s[42:43], v[160:161], v[190:191]
	v_add_f64 v[186:187], v[186:187], v[192:193]
	v_fmac_f64_e32 v[190:191], s[12:13], v[160:161]
	v_mul_f64 v[192:193], v[162:163], s[44:45]
	v_add_f64 v[188:189], v[188:189], v[196:197]
	v_add_f64 v[190:191], v[190:191], v[198:199]
	v_fma_f64 v[196:197], s[34:35], v[168:169], v[192:193]
	v_mul_f64 v[198:199], v[170:171], s[34:35]
	v_fma_f64 v[192:193], v[168:169], s[34:35], -v[192:193]
	v_add_f64 v[240:241], v[240:241], v[248:249]
	v_add_f64 v[194:195], v[194:195], v[206:207]
	v_fma_f64 v[206:207], s[30:31], v[160:161], v[198:199]
	v_add_f64 v[192:193], v[192:193], v[204:205]
	v_fmac_f64_e32 v[198:199], s[44:45], v[160:161]
	v_mul_f64 v[204:205], v[162:163], s[40:41]
	v_add_f64 v[234:235], v[234:235], v[242:243]
	v_add_f64 v[238:239], v[238:239], v[246:247]
	;; [unrolled: 1-line block ×5, first 2 shown]
	v_fma_f64 v[208:209], s[20:21], v[168:169], v[204:205]
	v_mul_f64 v[210:211], v[170:171], s[20:21]
	v_mul_f64 v[170:171], v[170:171], s[22:23]
	v_add_f64 v[236:237], v[236:237], v[244:245]
	v_add_f64 v[226:227], v[226:227], v[234:235]
	;; [unrolled: 1-line block ×5, first 2 shown]
	v_fma_f64 v[204:205], v[168:169], s[20:21], -v[204:205]
	v_mul_f64 v[162:163], v[162:163], s[16:17]
	v_fma_f64 v[216:217], s[38:39], v[160:161], v[170:171]
	v_add_f64 v[228:229], v[228:229], v[236:237]
	v_add_f64 v[218:219], v[218:219], v[226:227]
	;; [unrolled: 1-line block ×4, first 2 shown]
	v_fma_f64 v[212:213], s[18:19], v[160:161], v[210:211]
	v_add_f64 v[204:205], v[204:205], v[214:215]
	v_fmac_f64_e32 v[210:211], s[40:41], v[160:161]
	v_fma_f64 v[214:215], s[22:23], v[168:169], v[162:163]
	v_add_f64 v[216:217], v[216:217], v[224:225]
	v_add_f64 v[224:225], v[150:151], -v[158:159]
	v_add_f64 v[220:221], v[220:221], v[228:229]
	v_add_f64 v[210:211], v[210:211], v[218:219]
	;; [unrolled: 1-line block ×4, first 2 shown]
	v_add_f64 v[222:223], v[148:149], -v[156:157]
	v_mul_f64 v[148:149], v[224:225], s[30:31]
	v_add_f64 v[212:213], v[212:213], v[220:221]
	v_add_f64 v[220:221], v[150:151], v[158:159]
	v_fma_f64 v[150:151], s[34:35], v[218:219], v[148:149]
	v_fma_f64 v[148:149], v[218:219], s[34:35], -v[148:149]
	v_add_f64 v[148:149], v[148:149], v[164:165]
	v_mul_f64 v[164:165], v[224:225], s[40:41]
	v_fmac_f64_e32 v[170:171], s[16:17], v[160:161]
	v_add_f64 v[156:157], v[150:151], v[166:167]
	v_mul_f64 v[150:151], v[220:221], s[34:35]
	v_fma_f64 v[160:161], s[20:21], v[218:219], v[164:165]
	v_fma_f64 v[164:165], v[218:219], s[20:21], -v[164:165]
	v_fma_f64 v[162:163], v[168:169], s[22:23], -v[162:163]
	v_fma_f64 v[158:159], s[44:45], v[222:223], v[150:151]
	v_fmac_f64_e32 v[150:151], s[30:31], v[222:223]
	v_mul_f64 v[166:167], v[220:221], s[20:21]
	v_add_f64 v[164:165], v[164:165], v[174:175]
	v_mul_f64 v[174:175], v[220:221], s[26:27]
	v_add_f64 v[0:1], v[162:163], v[0:1]
	v_add_f64 v[2:3], v[170:171], v[2:3]
	;; [unrolled: 1-line block ×3, first 2 shown]
	v_fma_f64 v[162:163], s[18:19], v[222:223], v[166:167]
	v_fmac_f64_e32 v[166:167], s[40:41], v[222:223]
	v_mul_f64 v[172:173], v[224:225], s[24:25]
	v_fma_f64 v[170:171], s[36:37], v[222:223], v[174:175]
	v_fmac_f64_e32 v[174:175], s[24:25], v[222:223]
	v_add_f64 v[162:163], v[162:163], v[182:183]
	v_add_f64 v[166:167], v[166:167], v[180:181]
	v_fma_f64 v[168:169], s[26:27], v[218:219], v[172:173]
	v_fma_f64 v[172:173], v[218:219], s[26:27], -v[172:173]
	v_add_f64 v[174:175], v[174:175], v[190:191]
	v_mul_f64 v[180:181], v[224:225], s[42:43]
	v_mul_f64 v[182:183], v[220:221], s[14:15]
	;; [unrolled: 1-line block ×3, first 2 shown]
	v_add_f64 v[158:159], v[158:159], v[176:177]
	v_add_f64 v[160:161], v[160:161], v[178:179]
	;; [unrolled: 1-line block ×3, first 2 shown]
	v_fma_f64 v[176:177], s[14:15], v[218:219], v[180:181]
	v_fma_f64 v[178:179], s[12:13], v[222:223], v[182:183]
	v_fma_f64 v[180:181], v[218:219], s[14:15], -v[180:181]
	v_fmac_f64_e32 v[182:183], s[42:43], v[222:223]
	v_fma_f64 v[186:187], s[22:23], v[218:219], v[190:191]
	v_fma_f64 v[190:191], v[218:219], s[22:23], -v[190:191]
	v_add_f64 v[180:181], v[180:181], v[192:193]
	v_add_f64 v[182:183], v[182:183], v[198:199]
	v_mul_f64 v[192:193], v[220:221], s[22:23]
	v_add_f64 v[190:191], v[190:191], v[204:205]
	v_mul_f64 v[198:199], v[224:225], s[28:29]
	v_mul_f64 v[204:205], v[220:221], s[10:11]
	v_add_f64 v[168:169], v[168:169], v[188:189]
	v_add_f64 v[170:171], v[170:171], v[194:195]
	;; [unrolled: 1-line block ×3, first 2 shown]
	v_fma_f64 v[188:189], s[38:39], v[222:223], v[192:193]
	v_fmac_f64_e32 v[192:193], s[16:17], v[222:223]
	v_fma_f64 v[194:195], s[10:11], v[218:219], v[198:199]
	v_fma_f64 v[196:197], s[8:9], v[222:223], v[204:205]
	v_add_f64 v[178:179], v[178:179], v[206:207]
	v_add_f64 v[186:187], v[186:187], v[208:209]
	;; [unrolled: 1-line block ×6, first 2 shown]
	v_fma_f64 v[198:199], v[218:219], s[10:11], -v[198:199]
	v_fmac_f64_e32 v[204:205], s[28:29], v[222:223]
	v_add_f64 v[210:211], v[198:199], v[0:1]
	v_add_f64 v[212:213], v[204:205], v[2:3]
	s_barrier
	ds_write_b128 v184, v[152:155]
	ds_write_b128 v184, v[156:159] offset:16
	ds_write_b128 v184, v[160:163] offset:32
	;; [unrolled: 1-line block ×12, first 2 shown]
	s_waitcnt lgkmcnt(0)
	s_barrier
	ds_read_b128 v[164:167], v201
	ds_read_b128 v[160:163], v201 offset:624
	ds_read_b128 v[196:199], v201 offset:2704
	;; [unrolled: 1-line block ×11, first 2 shown]
	s_and_saveexec_b64 s[0:1], vcc
	s_cbranch_execz .LBB0_7
; %bb.6:
	ds_read_b128 v[148:151], v201 offset:2496
	ds_read_b128 v[92:95], v201 offset:5200
	;; [unrolled: 1-line block ×3, first 2 shown]
.LBB0_7:
	s_or_b64 exec, exec, s[0:1]
	s_waitcnt lgkmcnt(9)
	v_mul_f64 v[0:1], v[66:67], v[198:199]
	v_mul_f64 v[2:3], v[66:67], v[196:197]
	s_waitcnt lgkmcnt(7)
	v_mul_f64 v[66:67], v[62:63], v[194:195]
	v_mul_f64 v[62:63], v[62:63], v[192:193]
	v_fmac_f64_e32 v[66:67], v[60:61], v[192:193]
	v_fma_f64 v[192:193], v[60:61], v[194:195], -v[62:63]
	v_mul_f64 v[194:195], v[74:75], v[190:191]
	v_mul_f64 v[60:61], v[74:75], v[188:189]
	v_fmac_f64_e32 v[194:195], v[72:73], v[188:189]
	v_fma_f64 v[74:75], v[72:73], v[190:191], -v[60:61]
	s_waitcnt lgkmcnt(6)
	v_mul_f64 v[188:189], v[70:71], v[182:183]
	v_mul_f64 v[60:61], v[70:71], v[180:181]
	v_fmac_f64_e32 v[188:189], v[68:69], v[180:181]
	v_fma_f64 v[180:181], v[68:69], v[182:183], -v[60:61]
	s_waitcnt lgkmcnt(3)
	;; [unrolled: 5-line block ×3, first 2 shown]
	v_mul_f64 v[184:185], v[78:79], v[178:179]
	v_mul_f64 v[60:61], v[78:79], v[176:177]
	v_fmac_f64_e32 v[0:1], v[64:65], v[196:197]
	v_fmac_f64_e32 v[184:185], v[76:77], v[176:177]
	v_fma_f64 v[176:177], v[76:77], v[178:179], -v[60:61]
	v_mul_f64 v[178:179], v[90:91], v[174:175]
	v_mul_f64 v[60:61], v[90:91], v[172:173]
	v_fma_f64 v[2:3], v[64:65], v[198:199], -v[2:3]
	v_fmac_f64_e32 v[178:179], v[88:89], v[172:173]
	v_fma_f64 v[90:91], v[88:89], v[174:175], -v[60:61]
	s_waitcnt lgkmcnt(0)
	v_mul_f64 v[172:173], v[86:87], v[170:171]
	v_mul_f64 v[60:61], v[86:87], v[168:169]
	v_add_f64 v[62:63], v[0:1], v[66:67]
	s_mov_b32 s0, 0xe8584caa
	v_fmac_f64_e32 v[172:173], v[84:85], v[168:169]
	v_fma_f64 v[168:169], v[84:85], v[170:171], -v[60:61]
	v_add_f64 v[60:61], v[164:165], v[0:1]
	v_fmac_f64_e32 v[164:165], -0.5, v[62:63]
	v_add_f64 v[62:63], v[2:3], -v[192:193]
	s_mov_b32 s1, 0xbfebb67a
	s_mov_b32 s9, 0x3febb67a
	;; [unrolled: 1-line block ×3, first 2 shown]
	v_fma_f64 v[64:65], s[0:1], v[62:63], v[164:165]
	v_fmac_f64_e32 v[164:165], s[8:9], v[62:63]
	v_add_f64 v[62:63], v[166:167], v[2:3]
	v_add_f64 v[2:3], v[2:3], v[192:193]
	v_fmac_f64_e32 v[166:167], -0.5, v[2:3]
	v_add_f64 v[0:1], v[0:1], -v[66:67]
	v_add_f64 v[60:61], v[60:61], v[66:67]
	v_fma_f64 v[66:67], s[8:9], v[0:1], v[166:167]
	v_fmac_f64_e32 v[166:167], s[0:1], v[0:1]
	v_add_f64 v[0:1], v[160:161], v[194:195]
	v_add_f64 v[68:69], v[0:1], v[188:189]
	v_add_f64 v[0:1], v[194:195], v[188:189]
	v_fmac_f64_e32 v[160:161], -0.5, v[0:1]
	v_add_f64 v[0:1], v[74:75], -v[180:181]
	v_fma_f64 v[72:73], s[0:1], v[0:1], v[160:161]
	v_fmac_f64_e32 v[160:161], s[8:9], v[0:1]
	v_add_f64 v[0:1], v[162:163], v[74:75]
	v_add_f64 v[70:71], v[0:1], v[180:181]
	v_add_f64 v[0:1], v[74:75], v[180:181]
	v_fmac_f64_e32 v[162:163], -0.5, v[0:1]
	v_add_f64 v[0:1], v[194:195], -v[188:189]
	;; [unrolled: 7-line block ×6, first 2 shown]
	v_add_f64 v[62:63], v[62:63], v[192:193]
	v_fma_f64 v[90:91], s[8:9], v[0:1], v[154:155]
	v_fmac_f64_e32 v[154:155], s[0:1], v[0:1]
	v_accvgpr_read_b32 v0, a6
	s_barrier
	ds_write_b128 v0, v[60:63]
	ds_write_b128 v0, v[64:67] offset:208
	ds_write_b128 v0, v[164:167] offset:416
	v_accvgpr_read_b32 v0, a7
	ds_write_b128 v0, v[68:71]
	ds_write_b128 v0, v[72:75] offset:208
	ds_write_b128 v0, v[160:163] offset:416
	v_accvgpr_read_b32 v0, a8
	ds_write_b128 v0, v[76:79]
	ds_write_b128 v0, v[80:83] offset:208
	ds_write_b128 v0, v[156:159] offset:416
	ds_write_b128 v203, v[84:87]
	ds_write_b128 v203, v[88:91] offset:208
	ds_write_b128 v203, v[152:155] offset:416
	s_and_saveexec_b64 s[10:11], vcc
	s_cbranch_execz .LBB0_9
; %bb.8:
	v_mul_f64 v[0:1], v[58:59], v[92:93]
	v_mul_f64 v[2:3], v[54:55], v[96:97]
	;; [unrolled: 1-line block ×3, first 2 shown]
	v_fma_f64 v[0:1], v[56:57], v[94:95], -v[0:1]
	v_fma_f64 v[2:3], v[52:53], v[98:99], -v[2:3]
	v_fmac_f64_e32 v[62:63], v[56:57], v[92:93]
	v_mul_f64 v[56:57], v[54:55], v[98:99]
	v_add_f64 v[60:61], v[0:1], v[2:3]
	v_fmac_f64_e32 v[56:57], v[52:53], v[96:97]
	v_fma_f64 v[60:61], -0.5, v[60:61], v[150:151]
	v_add_f64 v[52:53], v[62:63], -v[56:57]
	v_fma_f64 v[54:55], s[0:1], v[52:53], v[60:61]
	v_fmac_f64_e32 v[60:61], s[8:9], v[52:53]
	v_add_f64 v[52:53], v[150:151], v[0:1]
	v_add_f64 v[64:65], v[52:53], v[2:3]
	;; [unrolled: 1-line block ×3, first 2 shown]
	v_fma_f64 v[58:59], -0.5, v[52:53], v[148:149]
	v_add_f64 v[0:1], v[0:1], -v[2:3]
	v_fma_f64 v[52:53], s[8:9], v[0:1], v[58:59]
	v_fmac_f64_e32 v[58:59], s[0:1], v[0:1]
	v_add_f64 v[0:1], v[148:149], v[62:63]
	v_add_f64 v[62:63], v[0:1], v[56:57]
	v_accvgpr_read_b32 v0, a5
	v_and_b32_e32 v0, 0xff, v0
	v_accvgpr_read_b32 v1, a4
	v_lshl_add_u32 v0, v0, 4, v1
	ds_write_b128 v0, v[62:65] offset:7488
	ds_write_b128 v0, v[58:61] offset:7696
	;; [unrolled: 1-line block ×3, first 2 shown]
.LBB0_9:
	s_or_b64 exec, exec, s[10:11]
	s_waitcnt lgkmcnt(0)
	s_barrier
	ds_read_b128 v[56:59], v201
	ds_read_b128 v[52:55], v201 offset:624
	ds_read_b128 v[66:69], v201 offset:1248
	ds_read_b128 v[70:73], v201 offset:1872
	ds_read_b128 v[74:77], v201 offset:2496
	ds_read_b128 v[78:81], v201 offset:3120
	ds_read_b128 v[86:89], v201 offset:3744
	ds_read_b128 v[94:97], v201 offset:4368
	ds_read_b128 v[148:151], v201 offset:4992
	ds_read_b128 v[152:155], v201 offset:5616
	ds_read_b128 v[156:159], v201 offset:6240
	ds_read_b128 v[160:163], v201 offset:6864
	ds_read_b128 v[164:167], v201 offset:7488
	s_waitcnt lgkmcnt(11)
	v_mul_f64 v[0:1], v[114:115], v[54:55]
	v_fmac_f64_e32 v[0:1], v[112:113], v[52:53]
	v_mul_f64 v[2:3], v[114:115], v[52:53]
	s_waitcnt lgkmcnt(10)
	v_mul_f64 v[98:99], v[110:111], v[68:69]
	v_mul_f64 v[52:53], v[110:111], v[66:67]
	v_fmac_f64_e32 v[98:99], v[108:109], v[66:67]
	v_fma_f64 v[108:109], v[108:109], v[68:69], -v[52:53]
	s_waitcnt lgkmcnt(9)
	v_mul_f64 v[52:53], v[106:107], v[70:71]
	v_fma_f64 v[92:93], v[104:105], v[72:73], -v[52:53]
	s_waitcnt lgkmcnt(8)
	v_mul_f64 v[52:53], v[102:103], v[74:75]
	;; [unrolled: 3-line block ×3, first 2 shown]
	v_mul_f64 v[82:83], v[102:103], v[76:77]
	v_fma_f64 v[76:77], v[128:129], v[80:81], -v[52:53]
	s_waitcnt lgkmcnt(6)
	v_mul_f64 v[52:53], v[126:127], v[86:87]
	v_fma_f64 v[68:69], v[124:125], v[88:89], -v[52:53]
	s_waitcnt lgkmcnt(5)
	v_mul_f64 v[52:53], v[122:123], v[94:95]
	v_mul_f64 v[90:91], v[106:107], v[72:73]
	v_fma_f64 v[72:73], v[120:121], v[96:97], -v[52:53]
	s_waitcnt lgkmcnt(4)
	v_mul_f64 v[52:53], v[118:119], v[148:149]
	v_fmac_f64_e32 v[82:83], v[100:101], v[74:75]
	v_mul_f64 v[74:75], v[130:131], v[80:81]
	v_fma_f64 v[80:81], v[116:117], v[150:151], -v[52:53]
	s_waitcnt lgkmcnt(3)
	v_mul_f64 v[52:53], v[146:147], v[152:153]
	v_mul_f64 v[66:67], v[126:127], v[88:89]
	v_fma_f64 v[88:89], v[144:145], v[154:155], -v[52:53]
	s_waitcnt lgkmcnt(2)
	v_mul_f64 v[52:53], v[142:143], v[156:157]
	v_fmac_f64_e32 v[90:91], v[104:105], v[70:71]
	v_mul_f64 v[70:71], v[122:123], v[96:97]
	v_fma_f64 v[96:97], v[140:141], v[158:159], -v[52:53]
	s_waitcnt lgkmcnt(1)
	v_mul_f64 v[52:53], v[138:139], v[160:161]
	v_fma_f64 v[102:103], v[136:137], v[162:163], -v[52:53]
	s_waitcnt lgkmcnt(0)
	v_mul_f64 v[52:53], v[134:135], v[164:165]
	v_fma_f64 v[2:3], v[112:113], v[54:55], -v[2:3]
	v_fma_f64 v[106:107], v[132:133], v[166:167], -v[52:53]
	v_add_f64 v[52:53], v[56:57], v[0:1]
	v_add_f64 v[54:55], v[58:59], v[2:3]
	;; [unrolled: 1-line block ×5, first 2 shown]
	v_fmac_f64_e32 v[74:75], v[128:129], v[78:79]
	v_add_f64 v[54:55], v[54:55], v[92:93]
	v_add_f64 v[52:53], v[52:53], v[82:83]
	v_fmac_f64_e32 v[66:67], v[124:125], v[86:87]
	v_add_f64 v[54:55], v[54:55], v[84:85]
	v_add_f64 v[52:53], v[52:53], v[74:75]
	v_fmac_f64_e32 v[70:71], v[120:121], v[94:95]
	v_mul_f64 v[78:79], v[118:119], v[150:151]
	v_add_f64 v[54:55], v[54:55], v[76:77]
	v_add_f64 v[52:53], v[52:53], v[66:67]
	v_fmac_f64_e32 v[78:79], v[116:117], v[148:149]
	v_mul_f64 v[86:87], v[146:147], v[154:155]
	;; [unrolled: 4-line block ×3, first 2 shown]
	v_add_f64 v[54:55], v[54:55], v[72:73]
	v_add_f64 v[52:53], v[52:53], v[78:79]
	v_mad_u64_u32 v[62:63], s[0:1], s6, v202, 0
	v_fmac_f64_e32 v[94:95], v[140:141], v[156:157]
	v_mul_f64 v[100:101], v[138:139], v[162:163]
	v_add_f64 v[54:55], v[54:55], v[80:81]
	v_add_f64 v[52:53], v[52:53], v[86:87]
	v_fmac_f64_e32 v[100:101], v[136:137], v[160:161]
	v_mul_f64 v[104:105], v[134:135], v[166:167]
	v_add_f64 v[54:55], v[54:55], v[88:89]
	v_add_f64 v[52:53], v[52:53], v[94:95]
	s_mov_b32 s16, 0x4267c47c
	s_mov_b32 s10, 0x42a4c3d2
	;; [unrolled: 1-line block ×6, first 2 shown]
	v_mov_b32_e32 v60, s2
	v_mov_b32_e32 v61, s3
	v_fmac_f64_e32 v[104:105], v[132:133], v[164:165]
	v_add_f64 v[54:55], v[54:55], v[96:97]
	v_add_f64 v[52:53], v[52:53], v[100:101]
	;; [unrolled: 1-line block ×3, first 2 shown]
	v_add_f64 v[2:3], v[2:3], -v[106:107]
	s_mov_b32 s17, 0xbfddbe06
	s_mov_b32 s18, 0xe00740e9
	;; [unrolled: 1-line block ×12, first 2 shown]
	v_add_f64 v[54:55], v[54:55], v[102:103]
	v_add_f64 v[52:53], v[52:53], v[104:105]
	;; [unrolled: 1-line block ×3, first 2 shown]
	v_add_f64 v[0:1], v[0:1], -v[104:105]
	v_mul_f64 v[104:105], v[2:3], s[16:17]
	s_mov_b32 s19, 0x3fec55a7
	v_mul_f64 v[118:119], v[2:3], s[10:11]
	s_mov_b32 s13, 0x3fe22d96
	v_mul_f64 v[126:127], v[2:3], s[0:1]
	s_mov_b32 s3, 0x3fbedb7d
	v_mul_f64 v[134:135], v[2:3], s[22:23]
	s_mov_b32 s25, 0xbfd6b1d8
	v_mul_f64 v[142:143], v[2:3], s[28:29]
	s_mov_b32 s31, 0xbfe7f3cc
	v_mul_f64 v[2:3], v[2:3], s[36:37]
	s_mov_b32 s39, 0xbfef11f4
	v_add_f64 v[54:55], v[54:55], v[106:107]
	v_fma_f64 v[106:107], s[18:19], v[110:111], v[104:105]
	v_mul_f64 v[114:115], v[112:113], s[18:19]
	s_mov_b32 s21, 0x3fddbe06
	s_mov_b32 s20, s16
	v_fma_f64 v[104:105], v[110:111], s[18:19], -v[104:105]
	v_fma_f64 v[120:121], s[12:13], v[110:111], v[118:119]
	v_mul_f64 v[122:123], v[112:113], s[12:13]
	s_mov_b32 s15, 0x3fea55e2
	s_mov_b32 s14, s10
	v_fma_f64 v[118:119], v[110:111], s[12:13], -v[118:119]
	;; [unrolled: 5-line block ×6, first 2 shown]
	v_add_f64 v[106:107], v[56:57], v[106:107]
	v_fma_f64 v[116:117], s[20:21], v[0:1], v[114:115]
	v_add_f64 v[104:105], v[56:57], v[104:105]
	v_fmac_f64_e32 v[114:115], s[16:17], v[0:1]
	v_add_f64 v[120:121], v[56:57], v[120:121]
	v_fma_f64 v[124:125], s[14:15], v[0:1], v[122:123]
	v_add_f64 v[118:119], v[56:57], v[118:119]
	v_fmac_f64_e32 v[122:123], s[10:11], v[0:1]
	;; [unrolled: 4-line block ×6, first 2 shown]
	v_add_f64 v[56:57], v[98:99], v[100:101]
	v_add_f64 v[98:99], v[98:99], -v[100:101]
	v_add_f64 v[100:101], v[108:109], -v[102:103]
	v_add_f64 v[116:117], v[58:59], v[116:117]
	v_add_f64 v[114:115], v[58:59], v[114:115]
	v_add_f64 v[124:125], v[58:59], v[124:125]
	v_add_f64 v[122:123], v[58:59], v[122:123]
	v_add_f64 v[132:133], v[58:59], v[132:133]
	v_add_f64 v[130:131], v[58:59], v[130:131]
	v_add_f64 v[140:141], v[58:59], v[140:141]
	v_add_f64 v[138:139], v[58:59], v[138:139]
	v_add_f64 v[148:149], v[58:59], v[148:149]
	v_add_f64 v[146:147], v[58:59], v[146:147]
	v_add_f64 v[152:153], v[58:59], v[152:153]
	v_add_f64 v[0:1], v[58:59], v[112:113]
	v_add_f64 v[58:59], v[108:109], v[102:103]
	v_mul_f64 v[102:103], v[100:101], s[10:11]
	v_fma_f64 v[108:109], s[12:13], v[56:57], v[102:103]
	v_add_f64 v[106:107], v[108:109], v[106:107]
	v_mul_f64 v[108:109], v[58:59], s[12:13]
	v_fma_f64 v[110:111], s[14:15], v[98:99], v[108:109]
	v_fma_f64 v[102:103], v[56:57], s[12:13], -v[102:103]
	v_fmac_f64_e32 v[108:109], s[10:11], v[98:99]
	v_add_f64 v[102:103], v[102:103], v[104:105]
	v_add_f64 v[104:105], v[108:109], v[114:115]
	v_mul_f64 v[108:109], v[100:101], s[22:23]
	v_fma_f64 v[112:113], s[24:25], v[56:57], v[108:109]
	v_mul_f64 v[114:115], v[58:59], s[24:25]
	v_fma_f64 v[108:109], v[56:57], s[24:25], -v[108:109]
	v_add_f64 v[110:111], v[110:111], v[116:117]
	v_fma_f64 v[116:117], s[26:27], v[98:99], v[114:115]
	v_add_f64 v[108:109], v[108:109], v[118:119]
	v_fmac_f64_e32 v[114:115], s[22:23], v[98:99]
	v_mul_f64 v[118:119], v[100:101], s[36:37]
	v_add_f64 v[112:113], v[112:113], v[120:121]
	v_add_f64 v[114:115], v[114:115], v[122:123]
	v_fma_f64 v[120:121], s[38:39], v[56:57], v[118:119]
	v_mul_f64 v[122:123], v[58:59], s[38:39]
	v_fma_f64 v[118:119], v[56:57], s[38:39], -v[118:119]
	v_add_f64 v[116:117], v[116:117], v[124:125]
	v_fma_f64 v[124:125], s[40:41], v[98:99], v[122:123]
	v_add_f64 v[118:119], v[118:119], v[126:127]
	v_fmac_f64_e32 v[122:123], s[36:37], v[98:99]
	v_mul_f64 v[126:127], v[100:101], s[34:35]
	v_add_f64 v[120:121], v[120:121], v[128:129]
	v_add_f64 v[122:123], v[122:123], v[130:131]
	;; [unrolled: 10-line block ×3, first 2 shown]
	v_fma_f64 v[136:137], s[2:3], v[56:57], v[134:135]
	v_mul_f64 v[138:139], v[58:59], s[2:3]
	v_mul_f64 v[58:59], v[58:59], s[18:19]
	v_add_f64 v[136:137], v[136:137], v[144:145]
	v_fma_f64 v[134:135], v[56:57], s[2:3], -v[134:135]
	v_mul_f64 v[100:101], v[100:101], s[20:21]
	v_fma_f64 v[144:145], s[16:17], v[98:99], v[58:59]
	v_fmac_f64_e32 v[58:59], s[20:21], v[98:99]
	v_add_f64 v[134:135], v[134:135], v[142:143]
	v_fma_f64 v[142:143], s[18:19], v[56:57], v[100:101]
	v_fma_f64 v[56:57], v[56:57], s[18:19], -v[100:101]
	v_add_f64 v[0:1], v[58:59], v[0:1]
	v_add_f64 v[58:59], v[92:93], v[96:97]
	v_add_f64 v[92:93], v[92:93], -v[96:97]
	v_add_f64 v[2:3], v[56:57], v[2:3]
	v_add_f64 v[56:57], v[90:91], v[94:95]
	v_add_f64 v[90:91], v[90:91], -v[94:95]
	v_mul_f64 v[94:95], v[92:93], s[0:1]
	v_add_f64 v[132:133], v[132:133], v[140:141]
	v_fma_f64 v[140:141], s[0:1], v[98:99], v[138:139]
	v_fmac_f64_e32 v[138:139], s[8:9], v[98:99]
	v_fma_f64 v[96:97], s[2:3], v[56:57], v[94:95]
	v_mul_f64 v[98:99], v[58:59], s[2:3]
	v_fma_f64 v[94:95], v[56:57], s[2:3], -v[94:95]
	v_fma_f64 v[100:101], s[8:9], v[90:91], v[98:99]
	v_add_f64 v[94:95], v[94:95], v[102:103]
	v_fmac_f64_e32 v[98:99], s[0:1], v[90:91]
	v_mul_f64 v[102:103], v[92:93], s[36:37]
	v_add_f64 v[96:97], v[96:97], v[106:107]
	v_add_f64 v[98:99], v[98:99], v[104:105]
	v_fma_f64 v[104:105], s[38:39], v[56:57], v[102:103]
	v_mul_f64 v[106:107], v[58:59], s[38:39]
	v_fma_f64 v[102:103], v[56:57], s[38:39], -v[102:103]
	v_add_f64 v[100:101], v[100:101], v[110:111]
	v_fma_f64 v[110:111], s[40:41], v[90:91], v[106:107]
	v_add_f64 v[102:103], v[102:103], v[108:109]
	v_fmac_f64_e32 v[106:107], s[36:37], v[90:91]
	v_mul_f64 v[108:109], v[92:93], s[26:27]
	v_add_f64 v[104:105], v[104:105], v[112:113]
	v_add_f64 v[106:107], v[106:107], v[114:115]
	v_fma_f64 v[112:113], s[24:25], v[56:57], v[108:109]
	v_mul_f64 v[114:115], v[58:59], s[24:25]
	v_fma_f64 v[108:109], v[56:57], s[24:25], -v[108:109]
	v_add_f64 v[110:111], v[110:111], v[116:117]
	;; [unrolled: 10-line block ×3, first 2 shown]
	v_fma_f64 v[124:125], s[16:17], v[90:91], v[122:123]
	v_add_f64 v[118:119], v[118:119], v[126:127]
	v_fmac_f64_e32 v[122:123], s[20:21], v[90:91]
	v_mul_f64 v[126:127], v[92:93], s[10:11]
	v_add_f64 v[120:121], v[120:121], v[128:129]
	v_add_f64 v[122:123], v[122:123], v[130:131]
	v_fma_f64 v[128:129], s[12:13], v[56:57], v[126:127]
	v_mul_f64 v[130:131], v[58:59], s[12:13]
	v_mul_f64 v[58:59], v[58:59], s[30:31]
	v_add_f64 v[128:129], v[128:129], v[136:137]
	v_fma_f64 v[126:127], v[56:57], s[12:13], -v[126:127]
	v_mul_f64 v[92:93], v[92:93], s[28:29]
	v_fma_f64 v[136:137], s[34:35], v[90:91], v[58:59]
	v_fmac_f64_e32 v[58:59], s[28:29], v[90:91]
	v_add_f64 v[126:127], v[126:127], v[134:135]
	v_fma_f64 v[134:135], s[30:31], v[56:57], v[92:93]
	v_fma_f64 v[56:57], v[56:57], s[30:31], -v[92:93]
	v_add_f64 v[0:1], v[58:59], v[0:1]
	v_add_f64 v[58:59], v[84:85], v[88:89]
	v_add_f64 v[84:85], v[84:85], -v[88:89]
	v_add_f64 v[2:3], v[56:57], v[2:3]
	v_add_f64 v[56:57], v[82:83], v[86:87]
	v_add_f64 v[82:83], v[82:83], -v[86:87]
	v_mul_f64 v[86:87], v[84:85], s[22:23]
	v_add_f64 v[124:125], v[124:125], v[132:133]
	v_fma_f64 v[132:133], s[14:15], v[90:91], v[130:131]
	v_fmac_f64_e32 v[130:131], s[10:11], v[90:91]
	v_fma_f64 v[88:89], s[24:25], v[56:57], v[86:87]
	v_mul_f64 v[90:91], v[58:59], s[24:25]
	v_fma_f64 v[86:87], v[56:57], s[24:25], -v[86:87]
	v_fma_f64 v[92:93], s[26:27], v[82:83], v[90:91]
	v_add_f64 v[86:87], v[86:87], v[94:95]
	v_fmac_f64_e32 v[90:91], s[22:23], v[82:83]
	v_mul_f64 v[94:95], v[84:85], s[34:35]
	v_add_f64 v[88:89], v[88:89], v[96:97]
	v_add_f64 v[90:91], v[90:91], v[98:99]
	v_fma_f64 v[96:97], s[30:31], v[56:57], v[94:95]
	v_mul_f64 v[98:99], v[58:59], s[30:31]
	v_fma_f64 v[94:95], v[56:57], s[30:31], -v[94:95]
	v_add_f64 v[92:93], v[92:93], v[100:101]
	v_fma_f64 v[100:101], s[28:29], v[82:83], v[98:99]
	v_add_f64 v[94:95], v[94:95], v[102:103]
	v_fmac_f64_e32 v[98:99], s[34:35], v[82:83]
	v_mul_f64 v[102:103], v[84:85], s[20:21]
	v_add_f64 v[96:97], v[96:97], v[104:105]
	v_add_f64 v[98:99], v[98:99], v[106:107]
	v_fma_f64 v[104:105], s[18:19], v[56:57], v[102:103]
	v_mul_f64 v[106:107], v[58:59], s[18:19]
	v_fma_f64 v[102:103], v[56:57], s[18:19], -v[102:103]
	v_add_f64 v[100:101], v[100:101], v[110:111]
	v_fma_f64 v[110:111], s[16:17], v[82:83], v[106:107]
	v_add_f64 v[102:103], v[102:103], v[108:109]
	v_fmac_f64_e32 v[106:107], s[20:21], v[82:83]
	v_mul_f64 v[108:109], v[84:85], s[0:1]
	v_add_f64 v[104:105], v[104:105], v[112:113]
	v_add_f64 v[106:107], v[106:107], v[114:115]
	v_fma_f64 v[112:113], s[2:3], v[56:57], v[108:109]
	v_mul_f64 v[114:115], v[58:59], s[2:3]
	v_fma_f64 v[108:109], v[56:57], s[2:3], -v[108:109]
	v_add_f64 v[110:111], v[110:111], v[116:117]
	v_fma_f64 v[116:117], s[8:9], v[82:83], v[114:115]
	v_add_f64 v[108:109], v[108:109], v[118:119]
	v_fmac_f64_e32 v[114:115], s[0:1], v[82:83]
	v_mul_f64 v[118:119], v[84:85], s[40:41]
	v_add_f64 v[112:113], v[112:113], v[120:121]
	v_add_f64 v[114:115], v[114:115], v[122:123]
	v_fma_f64 v[120:121], s[38:39], v[56:57], v[118:119]
	v_mul_f64 v[122:123], v[58:59], s[38:39]
	v_mul_f64 v[58:59], v[58:59], s[12:13]
	v_add_f64 v[120:121], v[120:121], v[128:129]
	v_fma_f64 v[118:119], v[56:57], s[38:39], -v[118:119]
	v_mul_f64 v[84:85], v[84:85], s[14:15]
	v_fma_f64 v[128:129], s[10:11], v[82:83], v[58:59]
	v_fmac_f64_e32 v[58:59], s[14:15], v[82:83]
	v_add_f64 v[118:119], v[118:119], v[126:127]
	v_fma_f64 v[126:127], s[12:13], v[56:57], v[84:85]
	v_fma_f64 v[56:57], v[56:57], s[12:13], -v[84:85]
	v_add_f64 v[0:1], v[58:59], v[0:1]
	v_add_f64 v[58:59], v[76:77], v[80:81]
	v_add_f64 v[76:77], v[76:77], -v[80:81]
	v_add_f64 v[116:117], v[116:117], v[124:125]
	v_fma_f64 v[124:125], s[36:37], v[82:83], v[122:123]
	v_fmac_f64_e32 v[122:123], s[40:41], v[82:83]
	v_add_f64 v[2:3], v[56:57], v[2:3]
	v_add_f64 v[56:57], v[74:75], v[78:79]
	v_add_f64 v[74:75], v[74:75], -v[78:79]
	v_mul_f64 v[78:79], v[76:77], s[28:29]
	v_mul_f64 v[82:83], v[58:59], s[30:31]
	v_fma_f64 v[80:81], s[30:31], v[56:57], v[78:79]
	v_fma_f64 v[84:85], s[34:35], v[74:75], v[82:83]
	v_fma_f64 v[78:79], v[56:57], s[30:31], -v[78:79]
	v_fmac_f64_e32 v[82:83], s[28:29], v[74:75]
	v_add_f64 v[78:79], v[78:79], v[86:87]
	v_add_f64 v[82:83], v[82:83], v[90:91]
	v_mul_f64 v[86:87], v[76:77], s[8:9]
	v_mul_f64 v[90:91], v[58:59], s[2:3]
	v_add_f64 v[80:81], v[80:81], v[88:89]
	v_add_f64 v[84:85], v[84:85], v[92:93]
	v_fma_f64 v[88:89], s[2:3], v[56:57], v[86:87]
	v_fma_f64 v[92:93], s[0:1], v[74:75], v[90:91]
	v_fma_f64 v[86:87], v[56:57], s[2:3], -v[86:87]
	v_fmac_f64_e32 v[90:91], s[8:9], v[74:75]
	v_add_f64 v[86:87], v[86:87], v[94:95]
	v_add_f64 v[90:91], v[90:91], v[98:99]
	v_mul_f64 v[94:95], v[76:77], s[10:11]
	v_mul_f64 v[98:99], v[58:59], s[12:13]
	v_add_f64 v[88:89], v[88:89], v[96:97]
	v_add_f64 v[92:93], v[92:93], v[100:101]
	;; [unrolled: 10-line block ×3, first 2 shown]
	v_add_f64 v[100:101], v[100:101], v[110:111]
	v_fma_f64 v[104:105], s[38:39], v[56:57], v[102:103]
	v_fma_f64 v[110:111], s[36:37], v[74:75], v[106:107]
	v_fma_f64 v[102:103], v[56:57], s[38:39], -v[102:103]
	v_fmac_f64_e32 v[106:107], s[40:41], v[74:75]
	v_add_f64 v[142:143], v[142:143], v[150:151]
	v_add_f64 v[144:145], v[144:145], v[152:153]
	v_add_f64 v[132:133], v[132:133], v[140:141]
	v_add_f64 v[102:103], v[102:103], v[108:109]
	v_add_f64 v[106:107], v[106:107], v[114:115]
	v_mul_f64 v[108:109], v[76:77], s[20:21]
	v_mul_f64 v[114:115], v[58:59], s[18:19]
	v_add_f64 v[138:139], v[138:139], v[146:147]
	v_add_f64 v[134:135], v[134:135], v[142:143]
	;; [unrolled: 1-line block ×6, first 2 shown]
	v_fma_f64 v[112:113], s[18:19], v[56:57], v[108:109]
	v_fma_f64 v[116:117], s[16:17], v[74:75], v[114:115]
	v_fma_f64 v[108:109], v[56:57], s[18:19], -v[108:109]
	v_mul_f64 v[76:77], v[76:77], s[22:23]
	v_mul_f64 v[58:59], v[58:59], s[24:25]
	v_add_f64 v[130:131], v[130:131], v[138:139]
	v_add_f64 v[126:127], v[126:127], v[134:135]
	;; [unrolled: 1-line block ×6, first 2 shown]
	v_fma_f64 v[118:119], s[24:25], v[56:57], v[76:77]
	v_fma_f64 v[120:121], s[26:27], v[74:75], v[58:59]
	v_add_f64 v[124:125], v[68:69], v[72:73]
	v_add_f64 v[122:123], v[122:123], v[130:131]
	v_fmac_f64_e32 v[114:115], s[20:21], v[74:75]
	v_add_f64 v[118:119], v[118:119], v[126:127]
	v_add_f64 v[120:121], v[120:121], v[128:129]
	v_fmac_f64_e32 v[58:59], s[22:23], v[74:75]
	v_add_f64 v[126:127], v[66:67], -v[70:71]
	v_add_f64 v[128:129], v[68:69], -v[72:73]
	v_mul_f64 v[68:69], v[124:125], s[38:39]
	v_add_f64 v[114:115], v[114:115], v[122:123]
	v_fma_f64 v[56:57], v[56:57], s[24:25], -v[76:77]
	v_add_f64 v[0:1], v[58:59], v[0:1]
	v_add_f64 v[122:123], v[66:67], v[70:71]
	v_mul_f64 v[66:67], v[128:129], s[36:37]
	v_fma_f64 v[58:59], s[40:41], v[126:127], v[68:69]
	v_add_f64 v[2:3], v[56:57], v[2:3]
	v_fma_f64 v[56:57], s[38:39], v[122:123], v[66:67]
	v_add_f64 v[58:59], v[58:59], v[84:85]
	v_fmac_f64_e32 v[68:69], s[36:37], v[126:127]
	v_mul_f64 v[76:77], v[124:125], s[18:19]
	v_mul_f64 v[84:85], v[124:125], s[30:31]
	v_add_f64 v[56:57], v[56:57], v[80:81]
	v_fma_f64 v[66:67], v[122:123], s[38:39], -v[66:67]
	v_add_f64 v[68:69], v[68:69], v[82:83]
	v_mul_f64 v[74:75], v[128:129], s[20:21]
	v_fma_f64 v[72:73], s[16:17], v[126:127], v[76:77]
	v_mul_f64 v[82:83], v[128:129], s[28:29]
	v_fma_f64 v[80:81], s[34:35], v[126:127], v[84:85]
	v_fmac_f64_e32 v[84:85], s[28:29], v[126:127]
	v_add_f64 v[66:67], v[66:67], v[78:79]
	v_fma_f64 v[70:71], s[18:19], v[122:123], v[74:75]
	v_add_f64 v[72:73], v[72:73], v[92:93]
	v_fmac_f64_e32 v[76:77], s[20:21], v[126:127]
	v_fma_f64 v[78:79], s[30:31], v[122:123], v[82:83]
	v_fma_f64 v[82:83], v[122:123], s[30:31], -v[82:83]
	v_add_f64 v[84:85], v[84:85], v[98:99]
	v_mul_f64 v[92:93], v[124:125], s[12:13]
	v_mul_f64 v[98:99], v[128:129], s[22:23]
	v_add_f64 v[70:71], v[70:71], v[88:89]
	v_fma_f64 v[74:75], v[122:123], s[18:19], -v[74:75]
	v_add_f64 v[76:77], v[76:77], v[90:91]
	v_add_f64 v[82:83], v[82:83], v[94:95]
	v_mul_f64 v[90:91], v[128:129], s[14:15]
	v_fma_f64 v[88:89], s[10:11], v[126:127], v[92:93]
	v_fmac_f64_e32 v[92:93], s[14:15], v[126:127]
	v_fma_f64 v[94:95], s[24:25], v[122:123], v[98:99]
	v_fma_f64 v[98:99], v[122:123], s[24:25], -v[98:99]
	v_add_f64 v[74:75], v[74:75], v[86:87]
	v_add_f64 v[80:81], v[80:81], v[100:101]
	v_fma_f64 v[86:87], s[12:13], v[122:123], v[90:91]
	v_fma_f64 v[90:91], v[122:123], s[12:13], -v[90:91]
	v_add_f64 v[92:93], v[92:93], v[106:107]
	v_mul_f64 v[100:101], v[124:125], s[24:25]
	v_add_f64 v[98:99], v[98:99], v[108:109]
	v_mul_f64 v[106:107], v[128:129], s[8:9]
	v_mul_f64 v[108:109], v[124:125], s[2:3]
	v_add_f64 v[78:79], v[78:79], v[96:97]
	v_add_f64 v[86:87], v[86:87], v[104:105]
	v_add_f64 v[90:91], v[90:91], v[102:103]
	v_fma_f64 v[96:97], s[26:27], v[126:127], v[100:101]
	v_fmac_f64_e32 v[100:101], s[22:23], v[126:127]
	v_fma_f64 v[102:103], s[2:3], v[122:123], v[106:107]
	v_fma_f64 v[104:105], s[0:1], v[126:127], v[108:109]
	v_fma_f64 v[106:107], v[122:123], s[2:3], -v[106:107]
	v_fmac_f64_e32 v[108:109], s[8:9], v[126:127]
	v_add_f64 v[88:89], v[88:89], v[110:111]
	v_add_f64 v[94:95], v[94:95], v[112:113]
	;; [unrolled: 1-line block ×8, first 2 shown]
	ds_write_b128 v201, v[52:55]
	ds_write_b128 v201, v[56:59] offset:624
	ds_write_b128 v201, v[70:73] offset:1248
	;; [unrolled: 1-line block ×12, first 2 shown]
	s_waitcnt lgkmcnt(0)
	s_barrier
	ds_read_b128 v[52:55], v201
	ds_read_b128 v[56:59], v201 offset:624
	v_mov_b32_e32 v64, v63
	v_mad_u64_u32 v[0:1], s[0:1], s7, v202, v[64:65]
	v_mov_b32_e32 v63, v0
	s_waitcnt lgkmcnt(1)
	v_mul_f64 v[0:1], v[46:47], v[54:55]
	s_mov_b32 s0, 0xfc7729e9
	v_fmac_f64_e32 v[0:1], v[44:45], v[52:53]
	s_mov_b32 s1, 0x3f602864
	v_mul_f64 v[64:65], v[0:1], s[0:1]
	v_mul_f64 v[0:1], v[46:47], v[52:53]
	v_fma_f64 v[0:1], v[44:45], v[54:55], -v[0:1]
	v_mul_f64 v[66:67], v[0:1], s[0:1]
	v_mad_u64_u32 v[0:1], s[2:3], s4, v200, 0
	v_mov_b32_e32 v2, v1
	v_mad_u64_u32 v[2:3], s[2:3], s5, v200, v[2:3]
	v_mov_b32_e32 v1, v2
	v_lshl_add_u64 v[2:3], v[62:63], 4, v[60:61]
	v_lshl_add_u64 v[0:1], v[0:1], 4, v[2:3]
	s_waitcnt lgkmcnt(0)
	v_mul_f64 v[2:3], v[18:19], v[58:59]
	v_fmac_f64_e32 v[2:3], v[16:17], v[56:57]
	v_mul_f64 v[44:45], v[2:3], s[0:1]
	v_mul_f64 v[2:3], v[18:19], v[56:57]
	v_fma_f64 v[2:3], v[16:17], v[58:59], -v[2:3]
	v_mov_b32_e32 v56, 0x270
	ds_read_b128 v[16:19], v201 offset:1248
	global_store_dwordx4 v[0:1], v[64:67], off
	v_mad_u64_u32 v[0:1], s[2:3], s4, v56, v[0:1]
	s_mul_i32 s2, s5, 0x270
	v_mul_f64 v[46:47], v[2:3], s[0:1]
	v_add_u32_e32 v1, s2, v1
	global_store_dwordx4 v[0:1], v[44:47], off
	ds_read_b128 v[44:47], v201 offset:1872
	s_waitcnt lgkmcnt(1)
	v_mul_f64 v[2:3], v[42:43], v[18:19]
	v_fmac_f64_e32 v[2:3], v[40:41], v[16:17]
	v_mul_f64 v[52:53], v[2:3], s[0:1]
	v_mul_f64 v[2:3], v[42:43], v[16:17]
	v_fma_f64 v[2:3], v[40:41], v[18:19], -v[2:3]
	v_mul_f64 v[54:55], v[2:3], s[0:1]
	s_waitcnt lgkmcnt(0)
	v_mul_f64 v[2:3], v[34:35], v[46:47]
	v_fmac_f64_e32 v[2:3], v[32:33], v[44:45]
	v_mul_f64 v[16:17], v[2:3], s[0:1]
	v_mul_f64 v[2:3], v[34:35], v[44:45]
	v_mad_u64_u32 v[0:1], s[6:7], s4, v56, v[0:1]
	v_fma_f64 v[2:3], v[32:33], v[46:47], -v[2:3]
	ds_read_b128 v[32:35], v201 offset:2496
	v_add_u32_e32 v1, s2, v1
	global_store_dwordx4 v[0:1], v[52:55], off
	v_mad_u64_u32 v[0:1], s[6:7], s4, v56, v[0:1]
	v_mul_f64 v[18:19], v[2:3], s[0:1]
	v_add_u32_e32 v1, s2, v1
	global_store_dwordx4 v[0:1], v[16:19], off
	ds_read_b128 v[16:19], v201 offset:3120
	s_waitcnt lgkmcnt(1)
	v_mul_f64 v[2:3], v[50:51], v[34:35]
	v_fmac_f64_e32 v[2:3], v[48:49], v[32:33]
	v_mul_f64 v[40:41], v[2:3], s[0:1]
	v_mul_f64 v[2:3], v[50:51], v[32:33]
	v_fma_f64 v[2:3], v[48:49], v[34:35], -v[2:3]
	v_mul_f64 v[42:43], v[2:3], s[0:1]
	s_waitcnt lgkmcnt(0)
	v_mul_f64 v[2:3], v[22:23], v[18:19]
	v_fmac_f64_e32 v[2:3], v[20:21], v[16:17]
	v_mul_f64 v[32:33], v[2:3], s[0:1]
	v_mul_f64 v[2:3], v[22:23], v[16:17]
	v_fma_f64 v[2:3], v[20:21], v[18:19], -v[2:3]
	ds_read_b128 v[16:19], v201 offset:3744
	ds_read_b128 v[20:23], v201 offset:4368
	v_mad_u64_u32 v[0:1], s[6:7], s4, v56, v[0:1]
	v_add_u32_e32 v1, s2, v1
	global_store_dwordx4 v[0:1], v[40:43], off
	v_mul_f64 v[34:35], v[2:3], s[0:1]
	v_mad_u64_u32 v[0:1], s[6:7], s4, v56, v[0:1]
	v_accvgpr_read_b32 v43, a3
	v_accvgpr_read_b32 v42, a2
	;; [unrolled: 1-line block ×4, first 2 shown]
	s_waitcnt lgkmcnt(1)
	v_mul_f64 v[2:3], v[42:43], v[18:19]
	v_add_u32_e32 v1, s2, v1
	v_fmac_f64_e32 v[2:3], v[40:41], v[16:17]
	global_store_dwordx4 v[0:1], v[32:35], off
	s_nop 1
	v_mul_f64 v[32:33], v[2:3], s[0:1]
	v_mul_f64 v[2:3], v[42:43], v[16:17]
	v_fma_f64 v[2:3], v[40:41], v[18:19], -v[2:3]
	v_mad_u64_u32 v[40:41], s[6:7], s4, v56, v[0:1]
	v_mul_f64 v[34:35], v[2:3], s[0:1]
	v_add_u32_e32 v41, s2, v41
	s_waitcnt lgkmcnt(0)
	v_mul_f64 v[0:1], v[38:39], v[22:23]
	v_mul_f64 v[2:3], v[38:39], v[20:21]
	global_store_dwordx4 v[40:41], v[32:35], off
	v_fmac_f64_e32 v[0:1], v[36:37], v[20:21]
	v_fma_f64 v[2:3], v[36:37], v[22:23], -v[2:3]
	ds_read_b128 v[16:19], v201 offset:4992
	v_mad_u64_u32 v[32:33], s[6:7], s4, v56, v[40:41]
	v_mul_f64 v[0:1], v[0:1], s[0:1]
	v_mul_f64 v[2:3], v[2:3], s[0:1]
	v_add_u32_e32 v33, s2, v33
	global_store_dwordx4 v[32:33], v[0:3], off
	ds_read_b128 v[0:3], v201 offset:5616
	s_waitcnt lgkmcnt(1)
	v_mul_f64 v[20:21], v[10:11], v[18:19]
	v_mul_f64 v[10:11], v[10:11], v[16:17]
	v_fmac_f64_e32 v[20:21], v[8:9], v[16:17]
	v_fma_f64 v[8:9], v[8:9], v[18:19], -v[10:11]
	v_mul_f64 v[22:23], v[8:9], s[0:1]
	s_waitcnt lgkmcnt(0)
	v_mul_f64 v[8:9], v[26:27], v[2:3]
	v_fmac_f64_e32 v[8:9], v[24:25], v[0:1]
	v_mul_f64 v[0:1], v[26:27], v[0:1]
	v_fma_f64 v[0:1], v[24:25], v[2:3], -v[0:1]
	v_mad_u64_u32 v[16:17], s[6:7], s4, v56, v[32:33]
	v_mul_f64 v[10:11], v[0:1], s[0:1]
	ds_read_b128 v[0:3], v201 offset:6240
	v_mul_f64 v[20:21], v[20:21], s[0:1]
	v_add_u32_e32 v17, s2, v17
	global_store_dwordx4 v[16:17], v[20:23], off
	v_mul_f64 v[8:9], v[8:9], s[0:1]
	s_nop 0
	v_mad_u64_u32 v[20:21], s[6:7], s4, v56, v[16:17]
	v_add_u32_e32 v21, s2, v21
	global_store_dwordx4 v[20:21], v[8:11], off
	ds_read_b128 v[8:11], v201 offset:6864
	s_waitcnt lgkmcnt(1)
	v_mul_f64 v[16:17], v[6:7], v[2:3]
	v_fmac_f64_e32 v[16:17], v[4:5], v[0:1]
	v_mul_f64 v[0:1], v[6:7], v[0:1]
	v_fma_f64 v[0:1], v[4:5], v[2:3], -v[0:1]
	ds_read_b128 v[4:7], v201 offset:7488
	v_mad_u64_u32 v[20:21], s[6:7], s4, v56, v[20:21]
	v_mul_f64 v[18:19], v[0:1], s[0:1]
	v_add_u32_e32 v21, s2, v21
	s_waitcnt lgkmcnt(1)
	v_mul_f64 v[0:1], v[14:15], v[10:11]
	v_mul_f64 v[2:3], v[14:15], v[8:9]
	v_fmac_f64_e32 v[0:1], v[12:13], v[8:9]
	v_fma_f64 v[2:3], v[12:13], v[10:11], -v[2:3]
	v_mad_u64_u32 v[8:9], s[6:7], s4, v56, v[20:21]
	v_mul_f64 v[16:17], v[16:17], s[0:1]
	v_mul_f64 v[0:1], v[0:1], s[0:1]
	;; [unrolled: 1-line block ×3, first 2 shown]
	v_add_u32_e32 v9, s2, v9
	global_store_dwordx4 v[20:21], v[16:19], off
	global_store_dwordx4 v[8:9], v[0:3], off
	s_waitcnt lgkmcnt(0)
	s_nop 0
	v_mul_f64 v[0:1], v[30:31], v[6:7]
	v_mul_f64 v[2:3], v[30:31], v[4:5]
	v_fmac_f64_e32 v[0:1], v[28:29], v[4:5]
	v_fma_f64 v[2:3], v[28:29], v[6:7], -v[2:3]
	v_mul_f64 v[0:1], v[0:1], s[0:1]
	v_mul_f64 v[2:3], v[2:3], s[0:1]
	v_mad_u64_u32 v[4:5], s[0:1], s4, v56, v[8:9]
	v_add_u32_e32 v5, s2, v5
	global_store_dwordx4 v[4:5], v[0:3], off
.LBB0_10:
	s_endpgm
	.section	.rodata,"a",@progbits
	.p2align	6, 0x0
	.amdhsa_kernel bluestein_single_back_len507_dim1_dp_op_CI_CI
		.amdhsa_group_segment_fixed_size 24336
		.amdhsa_private_segment_fixed_size 0
		.amdhsa_kernarg_size 104
		.amdhsa_user_sgpr_count 2
		.amdhsa_user_sgpr_dispatch_ptr 0
		.amdhsa_user_sgpr_queue_ptr 0
		.amdhsa_user_sgpr_kernarg_segment_ptr 1
		.amdhsa_user_sgpr_dispatch_id 0
		.amdhsa_user_sgpr_kernarg_preload_length 0
		.amdhsa_user_sgpr_kernarg_preload_offset 0
		.amdhsa_user_sgpr_private_segment_size 0
		.amdhsa_uses_dynamic_stack 0
		.amdhsa_enable_private_segment 0
		.amdhsa_system_sgpr_workgroup_id_x 1
		.amdhsa_system_sgpr_workgroup_id_y 0
		.amdhsa_system_sgpr_workgroup_id_z 0
		.amdhsa_system_sgpr_workgroup_info 0
		.amdhsa_system_vgpr_workitem_id 0
		.amdhsa_next_free_vgpr 265
		.amdhsa_next_free_sgpr 46
		.amdhsa_accum_offset 256
		.amdhsa_reserve_vcc 1
		.amdhsa_float_round_mode_32 0
		.amdhsa_float_round_mode_16_64 0
		.amdhsa_float_denorm_mode_32 3
		.amdhsa_float_denorm_mode_16_64 3
		.amdhsa_dx10_clamp 1
		.amdhsa_ieee_mode 1
		.amdhsa_fp16_overflow 0
		.amdhsa_tg_split 0
		.amdhsa_exception_fp_ieee_invalid_op 0
		.amdhsa_exception_fp_denorm_src 0
		.amdhsa_exception_fp_ieee_div_zero 0
		.amdhsa_exception_fp_ieee_overflow 0
		.amdhsa_exception_fp_ieee_underflow 0
		.amdhsa_exception_fp_ieee_inexact 0
		.amdhsa_exception_int_div_zero 0
	.end_amdhsa_kernel
	.text
.Lfunc_end0:
	.size	bluestein_single_back_len507_dim1_dp_op_CI_CI, .Lfunc_end0-bluestein_single_back_len507_dim1_dp_op_CI_CI
                                        ; -- End function
	.section	.AMDGPU.csdata,"",@progbits
; Kernel info:
; codeLenInByte = 20916
; NumSgprs: 52
; NumVgprs: 256
; NumAgprs: 9
; TotalNumVgprs: 265
; ScratchSize: 0
; MemoryBound: 0
; FloatMode: 240
; IeeeMode: 1
; LDSByteSize: 24336 bytes/workgroup (compile time only)
; SGPRBlocks: 6
; VGPRBlocks: 33
; NumSGPRsForWavesPerEU: 52
; NumVGPRsForWavesPerEU: 265
; AccumOffset: 256
; Occupancy: 1
; WaveLimiterHint : 1
; COMPUTE_PGM_RSRC2:SCRATCH_EN: 0
; COMPUTE_PGM_RSRC2:USER_SGPR: 2
; COMPUTE_PGM_RSRC2:TRAP_HANDLER: 0
; COMPUTE_PGM_RSRC2:TGID_X_EN: 1
; COMPUTE_PGM_RSRC2:TGID_Y_EN: 0
; COMPUTE_PGM_RSRC2:TGID_Z_EN: 0
; COMPUTE_PGM_RSRC2:TIDIG_COMP_CNT: 0
; COMPUTE_PGM_RSRC3_GFX90A:ACCUM_OFFSET: 63
; COMPUTE_PGM_RSRC3_GFX90A:TG_SPLIT: 0
	.text
	.p2alignl 6, 3212836864
	.fill 256, 4, 3212836864
	.type	__hip_cuid_51e8a72658db627c,@object ; @__hip_cuid_51e8a72658db627c
	.section	.bss,"aw",@nobits
	.globl	__hip_cuid_51e8a72658db627c
__hip_cuid_51e8a72658db627c:
	.byte	0                               ; 0x0
	.size	__hip_cuid_51e8a72658db627c, 1

	.ident	"AMD clang version 19.0.0git (https://github.com/RadeonOpenCompute/llvm-project roc-6.4.0 25133 c7fe45cf4b819c5991fe208aaa96edf142730f1d)"
	.section	".note.GNU-stack","",@progbits
	.addrsig
	.addrsig_sym __hip_cuid_51e8a72658db627c
	.amdgpu_metadata
---
amdhsa.kernels:
  - .agpr_count:     9
    .args:
      - .actual_access:  read_only
        .address_space:  global
        .offset:         0
        .size:           8
        .value_kind:     global_buffer
      - .actual_access:  read_only
        .address_space:  global
        .offset:         8
        .size:           8
        .value_kind:     global_buffer
      - .actual_access:  read_only
        .address_space:  global
        .offset:         16
        .size:           8
        .value_kind:     global_buffer
      - .actual_access:  read_only
        .address_space:  global
        .offset:         24
        .size:           8
        .value_kind:     global_buffer
      - .actual_access:  read_only
        .address_space:  global
        .offset:         32
        .size:           8
        .value_kind:     global_buffer
      - .offset:         40
        .size:           8
        .value_kind:     by_value
      - .address_space:  global
        .offset:         48
        .size:           8
        .value_kind:     global_buffer
      - .address_space:  global
        .offset:         56
        .size:           8
        .value_kind:     global_buffer
      - .address_space:  global
        .offset:         64
        .size:           8
        .value_kind:     global_buffer
      - .address_space:  global
        .offset:         72
        .size:           8
        .value_kind:     global_buffer
      - .offset:         80
        .size:           4
        .value_kind:     by_value
      - .address_space:  global
        .offset:         88
        .size:           8
        .value_kind:     global_buffer
      - .address_space:  global
        .offset:         96
        .size:           8
        .value_kind:     global_buffer
    .group_segment_fixed_size: 24336
    .kernarg_segment_align: 8
    .kernarg_segment_size: 104
    .language:       OpenCL C
    .language_version:
      - 2
      - 0
    .max_flat_workgroup_size: 117
    .name:           bluestein_single_back_len507_dim1_dp_op_CI_CI
    .private_segment_fixed_size: 0
    .sgpr_count:     52
    .sgpr_spill_count: 0
    .symbol:         bluestein_single_back_len507_dim1_dp_op_CI_CI.kd
    .uniform_work_group_size: 1
    .uses_dynamic_stack: false
    .vgpr_count:     265
    .vgpr_spill_count: 0
    .wavefront_size: 64
amdhsa.target:   amdgcn-amd-amdhsa--gfx950
amdhsa.version:
  - 1
  - 2
...

	.end_amdgpu_metadata
